;; amdgpu-corpus repo=ROCm/composable_kernel kind=compiled arch=gfx906 opt=O3
	.amdgcn_target "amdgcn-amd-amdhsa--gfx906"
	.amdhsa_code_object_version 6
	.section	.text._ZN2ckL12flush_icacheEv,"axG",@progbits,_ZN2ckL12flush_icacheEv,comdat
	.globl	_ZN2ckL12flush_icacheEv         ; -- Begin function _ZN2ckL12flush_icacheEv
	.p2align	8
	.type	_ZN2ckL12flush_icacheEv,@function
_ZN2ckL12flush_icacheEv:                ; @_ZN2ckL12flush_icacheEv
; %bb.0:
	;;#ASMSTART
	s_icache_inv 
	s_nop 0 
	s_nop 0 
	;; [unrolled: 1-line block ×16, first 2 shown]
	
	;;#ASMEND
	s_endpgm
	.section	.rodata,"a",@progbits
	.p2align	6, 0x0
	.amdhsa_kernel _ZN2ckL12flush_icacheEv
		.amdhsa_group_segment_fixed_size 0
		.amdhsa_private_segment_fixed_size 0
		.amdhsa_kernarg_size 0
		.amdhsa_user_sgpr_count 4
		.amdhsa_user_sgpr_private_segment_buffer 1
		.amdhsa_user_sgpr_dispatch_ptr 0
		.amdhsa_user_sgpr_queue_ptr 0
		.amdhsa_user_sgpr_kernarg_segment_ptr 0
		.amdhsa_user_sgpr_dispatch_id 0
		.amdhsa_user_sgpr_flat_scratch_init 0
		.amdhsa_user_sgpr_private_segment_size 0
		.amdhsa_uses_dynamic_stack 0
		.amdhsa_system_sgpr_private_segment_wavefront_offset 0
		.amdhsa_system_sgpr_workgroup_id_x 1
		.amdhsa_system_sgpr_workgroup_id_y 0
		.amdhsa_system_sgpr_workgroup_id_z 0
		.amdhsa_system_sgpr_workgroup_info 0
		.amdhsa_system_vgpr_workitem_id 0
		.amdhsa_next_free_vgpr 1
		.amdhsa_next_free_sgpr 0
		.amdhsa_reserve_vcc 0
		.amdhsa_reserve_flat_scratch 0
		.amdhsa_float_round_mode_32 0
		.amdhsa_float_round_mode_16_64 0
		.amdhsa_float_denorm_mode_32 3
		.amdhsa_float_denorm_mode_16_64 3
		.amdhsa_dx10_clamp 1
		.amdhsa_ieee_mode 1
		.amdhsa_fp16_overflow 0
		.amdhsa_exception_fp_ieee_invalid_op 0
		.amdhsa_exception_fp_denorm_src 0
		.amdhsa_exception_fp_ieee_div_zero 0
		.amdhsa_exception_fp_ieee_overflow 0
		.amdhsa_exception_fp_ieee_underflow 0
		.amdhsa_exception_fp_ieee_inexact 0
		.amdhsa_exception_int_div_zero 0
	.end_amdhsa_kernel
	.section	.text._ZN2ckL12flush_icacheEv,"axG",@progbits,_ZN2ckL12flush_icacheEv,comdat
.Lfunc_end0:
	.size	_ZN2ckL12flush_icacheEv, .Lfunc_end0-_ZN2ckL12flush_icacheEv
                                        ; -- End function
	.set _ZN2ckL12flush_icacheEv.num_vgpr, 0
	.set _ZN2ckL12flush_icacheEv.num_agpr, 0
	.set _ZN2ckL12flush_icacheEv.numbered_sgpr, 0
	.set _ZN2ckL12flush_icacheEv.num_named_barrier, 0
	.set _ZN2ckL12flush_icacheEv.private_seg_size, 0
	.set _ZN2ckL12flush_icacheEv.uses_vcc, 0
	.set _ZN2ckL12flush_icacheEv.uses_flat_scratch, 0
	.set _ZN2ckL12flush_icacheEv.has_dyn_sized_stack, 0
	.set _ZN2ckL12flush_icacheEv.has_recursion, 0
	.set _ZN2ckL12flush_icacheEv.has_indirect_call, 0
	.section	.AMDGPU.csdata,"",@progbits
; Kernel info:
; codeLenInByte = 140
; TotalNumSgprs: 4
; NumVgprs: 0
; ScratchSize: 0
; MemoryBound: 0
; FloatMode: 240
; IeeeMode: 1
; LDSByteSize: 0 bytes/workgroup (compile time only)
; SGPRBlocks: 0
; VGPRBlocks: 0
; NumSGPRsForWavesPerEU: 4
; NumVGPRsForWavesPerEU: 1
; Occupancy: 10
; WaveLimiterHint : 0
; COMPUTE_PGM_RSRC2:SCRATCH_EN: 0
; COMPUTE_PGM_RSRC2:USER_SGPR: 4
; COMPUTE_PGM_RSRC2:TRAP_HANDLER: 0
; COMPUTE_PGM_RSRC2:TGID_X_EN: 1
; COMPUTE_PGM_RSRC2:TGID_Y_EN: 0
; COMPUTE_PGM_RSRC2:TGID_Z_EN: 0
; COMPUTE_PGM_RSRC2:TIDIG_COMP_CNT: 0
	.section	.text._ZN2ck19kernel_gemm_dl_v1r3INS_28GridwiseGemmDl_km_kn_mn_v1r3ILi256EfffLNS_25InMemoryDataOperationEnumE0ENS_16TensorDescriptorINS_5TupleIJNS_5EmbedINS4_IJiiEEENS4_IJNS_17integral_constantIiLi1EEEiEEELb0EEENS_7UnMergeINS4_IJiS8_EEELb0EEENS_11PassThroughIiEEEEENS4_IJNS_8SequenceIJLi0EEEENSH_IJLi2EEEENSH_IJLi1EEEEEEENS4_IJNSH_IJLi1ELi2EEEENSH_IJLi3ELi4EEEENSH_IJLi5EEEEEEENSH_IJLi3ELi5ELi4EEEElEENS3_INS4_IJNS5_IS6_SC_Lb0EEESD_SF_EEENS4_IJSI_SK_SJ_EEESP_SQ_lEENS3_INS4_IJSS_SF_SF_EEESU_NS4_IJSM_NSH_IJLi3EEEENSH_IJLi4EEEEEEESN_lEELi128ELi128ELi16ELi1ELi4ELi4ELi1ENSH_IJLi8ELi2EEEES11_NSH_IJLi2ELi1ELi4ELi1EEEENSH_IJLi8ELi1ELi32ELi1EEEENSH_IJLi0ELi3ELi1ELi2EEEES14_NSH_IJLi1ELi1ELi4ELi1EEEES14_S15_S12_S13_S14_S14_S15_S14_S15_NSH_IJLi0ELi1ELi2ELi3ELi4ELi5EEEELi5ELi4EEEffNS3_INS4_IJSA_SD_SF_SF_NSB_INS4_IJiNS7_IiLi128EEEEEELb0EEENSE_IS8_EEEEENS4_IJSI_SJ_SK_SX_SO_SY_EEENS4_IJSM_SN_SO_NSH_IJLi6EEEENSH_IJLi7ELi8EEEENSH_IJLi9EEEEEEENSH_IJLi6ELi7ELi8ELi9EEEElEENS3_INS4_IJSS_SD_SF_SF_S1A_S1B_EEENS4_IJSI_SK_SJ_SX_SO_SY_EEES1H_S1I_lEENS3_INS4_IJSS_SF_SF_NSB_INS4_IJiNS7_IiLi2EEENS7_IiLi64EEEEEELb0EEES1Q_EEENS4_IJSI_SK_SJ_SX_SY_EEENS4_IJSM_SX_SY_NSH_IJLi5ELi6ELi7EEEENSH_IJLi8ELi9ELi10EEEEEEENSH_IJLi5ELi6ELi7ELi8ELi9ELi10EEEElEENS_31BlockToCTileMap_M00_N00_M01_N01ILi128ELi128ES10_Lb0EEELb1ELb1EEEvPKT0_S22_PT1_T2_T3_T4_T5_,"axG",@progbits,_ZN2ck19kernel_gemm_dl_v1r3INS_28GridwiseGemmDl_km_kn_mn_v1r3ILi256EfffLNS_25InMemoryDataOperationEnumE0ENS_16TensorDescriptorINS_5TupleIJNS_5EmbedINS4_IJiiEEENS4_IJNS_17integral_constantIiLi1EEEiEEELb0EEENS_7UnMergeINS4_IJiS8_EEELb0EEENS_11PassThroughIiEEEEENS4_IJNS_8SequenceIJLi0EEEENSH_IJLi2EEEENSH_IJLi1EEEEEEENS4_IJNSH_IJLi1ELi2EEEENSH_IJLi3ELi4EEEENSH_IJLi5EEEEEEENSH_IJLi3ELi5ELi4EEEElEENS3_INS4_IJNS5_IS6_SC_Lb0EEESD_SF_EEENS4_IJSI_SK_SJ_EEESP_SQ_lEENS3_INS4_IJSS_SF_SF_EEESU_NS4_IJSM_NSH_IJLi3EEEENSH_IJLi4EEEEEEESN_lEELi128ELi128ELi16ELi1ELi4ELi4ELi1ENSH_IJLi8ELi2EEEES11_NSH_IJLi2ELi1ELi4ELi1EEEENSH_IJLi8ELi1ELi32ELi1EEEENSH_IJLi0ELi3ELi1ELi2EEEES14_NSH_IJLi1ELi1ELi4ELi1EEEES14_S15_S12_S13_S14_S14_S15_S14_S15_NSH_IJLi0ELi1ELi2ELi3ELi4ELi5EEEELi5ELi4EEEffNS3_INS4_IJSA_SD_SF_SF_NSB_INS4_IJiNS7_IiLi128EEEEEELb0EEENSE_IS8_EEEEENS4_IJSI_SJ_SK_SX_SO_SY_EEENS4_IJSM_SN_SO_NSH_IJLi6EEEENSH_IJLi7ELi8EEEENSH_IJLi9EEEEEEENSH_IJLi6ELi7ELi8ELi9EEEElEENS3_INS4_IJSS_SD_SF_SF_S1A_S1B_EEENS4_IJSI_SK_SJ_SX_SO_SY_EEES1H_S1I_lEENS3_INS4_IJSS_SF_SF_NSB_INS4_IJiNS7_IiLi2EEENS7_IiLi64EEEEEELb0EEES1Q_EEENS4_IJSI_SK_SJ_SX_SY_EEENS4_IJSM_SX_SY_NSH_IJLi5ELi6ELi7EEEENSH_IJLi8ELi9ELi10EEEEEEENSH_IJLi5ELi6ELi7ELi8ELi9ELi10EEEElEENS_31BlockToCTileMap_M00_N00_M01_N01ILi128ELi128ES10_Lb0EEELb1ELb1EEEvPKT0_S22_PT1_T2_T3_T4_T5_,comdat
	.protected	_ZN2ck19kernel_gemm_dl_v1r3INS_28GridwiseGemmDl_km_kn_mn_v1r3ILi256EfffLNS_25InMemoryDataOperationEnumE0ENS_16TensorDescriptorINS_5TupleIJNS_5EmbedINS4_IJiiEEENS4_IJNS_17integral_constantIiLi1EEEiEEELb0EEENS_7UnMergeINS4_IJiS8_EEELb0EEENS_11PassThroughIiEEEEENS4_IJNS_8SequenceIJLi0EEEENSH_IJLi2EEEENSH_IJLi1EEEEEEENS4_IJNSH_IJLi1ELi2EEEENSH_IJLi3ELi4EEEENSH_IJLi5EEEEEEENSH_IJLi3ELi5ELi4EEEElEENS3_INS4_IJNS5_IS6_SC_Lb0EEESD_SF_EEENS4_IJSI_SK_SJ_EEESP_SQ_lEENS3_INS4_IJSS_SF_SF_EEESU_NS4_IJSM_NSH_IJLi3EEEENSH_IJLi4EEEEEEESN_lEELi128ELi128ELi16ELi1ELi4ELi4ELi1ENSH_IJLi8ELi2EEEES11_NSH_IJLi2ELi1ELi4ELi1EEEENSH_IJLi8ELi1ELi32ELi1EEEENSH_IJLi0ELi3ELi1ELi2EEEES14_NSH_IJLi1ELi1ELi4ELi1EEEES14_S15_S12_S13_S14_S14_S15_S14_S15_NSH_IJLi0ELi1ELi2ELi3ELi4ELi5EEEELi5ELi4EEEffNS3_INS4_IJSA_SD_SF_SF_NSB_INS4_IJiNS7_IiLi128EEEEEELb0EEENSE_IS8_EEEEENS4_IJSI_SJ_SK_SX_SO_SY_EEENS4_IJSM_SN_SO_NSH_IJLi6EEEENSH_IJLi7ELi8EEEENSH_IJLi9EEEEEEENSH_IJLi6ELi7ELi8ELi9EEEElEENS3_INS4_IJSS_SD_SF_SF_S1A_S1B_EEENS4_IJSI_SK_SJ_SX_SO_SY_EEES1H_S1I_lEENS3_INS4_IJSS_SF_SF_NSB_INS4_IJiNS7_IiLi2EEENS7_IiLi64EEEEEELb0EEES1Q_EEENS4_IJSI_SK_SJ_SX_SY_EEENS4_IJSM_SX_SY_NSH_IJLi5ELi6ELi7EEEENSH_IJLi8ELi9ELi10EEEEEEENSH_IJLi5ELi6ELi7ELi8ELi9ELi10EEEElEENS_31BlockToCTileMap_M00_N00_M01_N01ILi128ELi128ES10_Lb0EEELb1ELb1EEEvPKT0_S22_PT1_T2_T3_T4_T5_ ; -- Begin function _ZN2ck19kernel_gemm_dl_v1r3INS_28GridwiseGemmDl_km_kn_mn_v1r3ILi256EfffLNS_25InMemoryDataOperationEnumE0ENS_16TensorDescriptorINS_5TupleIJNS_5EmbedINS4_IJiiEEENS4_IJNS_17integral_constantIiLi1EEEiEEELb0EEENS_7UnMergeINS4_IJiS8_EEELb0EEENS_11PassThroughIiEEEEENS4_IJNS_8SequenceIJLi0EEEENSH_IJLi2EEEENSH_IJLi1EEEEEEENS4_IJNSH_IJLi1ELi2EEEENSH_IJLi3ELi4EEEENSH_IJLi5EEEEEEENSH_IJLi3ELi5ELi4EEEElEENS3_INS4_IJNS5_IS6_SC_Lb0EEESD_SF_EEENS4_IJSI_SK_SJ_EEESP_SQ_lEENS3_INS4_IJSS_SF_SF_EEESU_NS4_IJSM_NSH_IJLi3EEEENSH_IJLi4EEEEEEESN_lEELi128ELi128ELi16ELi1ELi4ELi4ELi1ENSH_IJLi8ELi2EEEES11_NSH_IJLi2ELi1ELi4ELi1EEEENSH_IJLi8ELi1ELi32ELi1EEEENSH_IJLi0ELi3ELi1ELi2EEEES14_NSH_IJLi1ELi1ELi4ELi1EEEES14_S15_S12_S13_S14_S14_S15_S14_S15_NSH_IJLi0ELi1ELi2ELi3ELi4ELi5EEEELi5ELi4EEEffNS3_INS4_IJSA_SD_SF_SF_NSB_INS4_IJiNS7_IiLi128EEEEEELb0EEENSE_IS8_EEEEENS4_IJSI_SJ_SK_SX_SO_SY_EEENS4_IJSM_SN_SO_NSH_IJLi6EEEENSH_IJLi7ELi8EEEENSH_IJLi9EEEEEEENSH_IJLi6ELi7ELi8ELi9EEEElEENS3_INS4_IJSS_SD_SF_SF_S1A_S1B_EEENS4_IJSI_SK_SJ_SX_SO_SY_EEES1H_S1I_lEENS3_INS4_IJSS_SF_SF_NSB_INS4_IJiNS7_IiLi2EEENS7_IiLi64EEEEEELb0EEES1Q_EEENS4_IJSI_SK_SJ_SX_SY_EEENS4_IJSM_SX_SY_NSH_IJLi5ELi6ELi7EEEENSH_IJLi8ELi9ELi10EEEEEEENSH_IJLi5ELi6ELi7ELi8ELi9ELi10EEEElEENS_31BlockToCTileMap_M00_N00_M01_N01ILi128ELi128ES10_Lb0EEELb1ELb1EEEvPKT0_S22_PT1_T2_T3_T4_T5_
	.globl	_ZN2ck19kernel_gemm_dl_v1r3INS_28GridwiseGemmDl_km_kn_mn_v1r3ILi256EfffLNS_25InMemoryDataOperationEnumE0ENS_16TensorDescriptorINS_5TupleIJNS_5EmbedINS4_IJiiEEENS4_IJNS_17integral_constantIiLi1EEEiEEELb0EEENS_7UnMergeINS4_IJiS8_EEELb0EEENS_11PassThroughIiEEEEENS4_IJNS_8SequenceIJLi0EEEENSH_IJLi2EEEENSH_IJLi1EEEEEEENS4_IJNSH_IJLi1ELi2EEEENSH_IJLi3ELi4EEEENSH_IJLi5EEEEEEENSH_IJLi3ELi5ELi4EEEElEENS3_INS4_IJNS5_IS6_SC_Lb0EEESD_SF_EEENS4_IJSI_SK_SJ_EEESP_SQ_lEENS3_INS4_IJSS_SF_SF_EEESU_NS4_IJSM_NSH_IJLi3EEEENSH_IJLi4EEEEEEESN_lEELi128ELi128ELi16ELi1ELi4ELi4ELi1ENSH_IJLi8ELi2EEEES11_NSH_IJLi2ELi1ELi4ELi1EEEENSH_IJLi8ELi1ELi32ELi1EEEENSH_IJLi0ELi3ELi1ELi2EEEES14_NSH_IJLi1ELi1ELi4ELi1EEEES14_S15_S12_S13_S14_S14_S15_S14_S15_NSH_IJLi0ELi1ELi2ELi3ELi4ELi5EEEELi5ELi4EEEffNS3_INS4_IJSA_SD_SF_SF_NSB_INS4_IJiNS7_IiLi128EEEEEELb0EEENSE_IS8_EEEEENS4_IJSI_SJ_SK_SX_SO_SY_EEENS4_IJSM_SN_SO_NSH_IJLi6EEEENSH_IJLi7ELi8EEEENSH_IJLi9EEEEEEENSH_IJLi6ELi7ELi8ELi9EEEElEENS3_INS4_IJSS_SD_SF_SF_S1A_S1B_EEENS4_IJSI_SK_SJ_SX_SO_SY_EEES1H_S1I_lEENS3_INS4_IJSS_SF_SF_NSB_INS4_IJiNS7_IiLi2EEENS7_IiLi64EEEEEELb0EEES1Q_EEENS4_IJSI_SK_SJ_SX_SY_EEENS4_IJSM_SX_SY_NSH_IJLi5ELi6ELi7EEEENSH_IJLi8ELi9ELi10EEEEEEENSH_IJLi5ELi6ELi7ELi8ELi9ELi10EEEElEENS_31BlockToCTileMap_M00_N00_M01_N01ILi128ELi128ES10_Lb0EEELb1ELb1EEEvPKT0_S22_PT1_T2_T3_T4_T5_
	.p2align	8
	.type	_ZN2ck19kernel_gemm_dl_v1r3INS_28GridwiseGemmDl_km_kn_mn_v1r3ILi256EfffLNS_25InMemoryDataOperationEnumE0ENS_16TensorDescriptorINS_5TupleIJNS_5EmbedINS4_IJiiEEENS4_IJNS_17integral_constantIiLi1EEEiEEELb0EEENS_7UnMergeINS4_IJiS8_EEELb0EEENS_11PassThroughIiEEEEENS4_IJNS_8SequenceIJLi0EEEENSH_IJLi2EEEENSH_IJLi1EEEEEEENS4_IJNSH_IJLi1ELi2EEEENSH_IJLi3ELi4EEEENSH_IJLi5EEEEEEENSH_IJLi3ELi5ELi4EEEElEENS3_INS4_IJNS5_IS6_SC_Lb0EEESD_SF_EEENS4_IJSI_SK_SJ_EEESP_SQ_lEENS3_INS4_IJSS_SF_SF_EEESU_NS4_IJSM_NSH_IJLi3EEEENSH_IJLi4EEEEEEESN_lEELi128ELi128ELi16ELi1ELi4ELi4ELi1ENSH_IJLi8ELi2EEEES11_NSH_IJLi2ELi1ELi4ELi1EEEENSH_IJLi8ELi1ELi32ELi1EEEENSH_IJLi0ELi3ELi1ELi2EEEES14_NSH_IJLi1ELi1ELi4ELi1EEEES14_S15_S12_S13_S14_S14_S15_S14_S15_NSH_IJLi0ELi1ELi2ELi3ELi4ELi5EEEELi5ELi4EEEffNS3_INS4_IJSA_SD_SF_SF_NSB_INS4_IJiNS7_IiLi128EEEEEELb0EEENSE_IS8_EEEEENS4_IJSI_SJ_SK_SX_SO_SY_EEENS4_IJSM_SN_SO_NSH_IJLi6EEEENSH_IJLi7ELi8EEEENSH_IJLi9EEEEEEENSH_IJLi6ELi7ELi8ELi9EEEElEENS3_INS4_IJSS_SD_SF_SF_S1A_S1B_EEENS4_IJSI_SK_SJ_SX_SO_SY_EEES1H_S1I_lEENS3_INS4_IJSS_SF_SF_NSB_INS4_IJiNS7_IiLi2EEENS7_IiLi64EEEEEELb0EEES1Q_EEENS4_IJSI_SK_SJ_SX_SY_EEENS4_IJSM_SX_SY_NSH_IJLi5ELi6ELi7EEEENSH_IJLi8ELi9ELi10EEEEEEENSH_IJLi5ELi6ELi7ELi8ELi9ELi10EEEElEENS_31BlockToCTileMap_M00_N00_M01_N01ILi128ELi128ES10_Lb0EEELb1ELb1EEEvPKT0_S22_PT1_T2_T3_T4_T5_,@function
_ZN2ck19kernel_gemm_dl_v1r3INS_28GridwiseGemmDl_km_kn_mn_v1r3ILi256EfffLNS_25InMemoryDataOperationEnumE0ENS_16TensorDescriptorINS_5TupleIJNS_5EmbedINS4_IJiiEEENS4_IJNS_17integral_constantIiLi1EEEiEEELb0EEENS_7UnMergeINS4_IJiS8_EEELb0EEENS_11PassThroughIiEEEEENS4_IJNS_8SequenceIJLi0EEEENSH_IJLi2EEEENSH_IJLi1EEEEEEENS4_IJNSH_IJLi1ELi2EEEENSH_IJLi3ELi4EEEENSH_IJLi5EEEEEEENSH_IJLi3ELi5ELi4EEEElEENS3_INS4_IJNS5_IS6_SC_Lb0EEESD_SF_EEENS4_IJSI_SK_SJ_EEESP_SQ_lEENS3_INS4_IJSS_SF_SF_EEESU_NS4_IJSM_NSH_IJLi3EEEENSH_IJLi4EEEEEEESN_lEELi128ELi128ELi16ELi1ELi4ELi4ELi1ENSH_IJLi8ELi2EEEES11_NSH_IJLi2ELi1ELi4ELi1EEEENSH_IJLi8ELi1ELi32ELi1EEEENSH_IJLi0ELi3ELi1ELi2EEEES14_NSH_IJLi1ELi1ELi4ELi1EEEES14_S15_S12_S13_S14_S14_S15_S14_S15_NSH_IJLi0ELi1ELi2ELi3ELi4ELi5EEEELi5ELi4EEEffNS3_INS4_IJSA_SD_SF_SF_NSB_INS4_IJiNS7_IiLi128EEEEEELb0EEENSE_IS8_EEEEENS4_IJSI_SJ_SK_SX_SO_SY_EEENS4_IJSM_SN_SO_NSH_IJLi6EEEENSH_IJLi7ELi8EEEENSH_IJLi9EEEEEEENSH_IJLi6ELi7ELi8ELi9EEEElEENS3_INS4_IJSS_SD_SF_SF_S1A_S1B_EEENS4_IJSI_SK_SJ_SX_SO_SY_EEES1H_S1I_lEENS3_INS4_IJSS_SF_SF_NSB_INS4_IJiNS7_IiLi2EEENS7_IiLi64EEEEEELb0EEES1Q_EEENS4_IJSI_SK_SJ_SX_SY_EEENS4_IJSM_SX_SY_NSH_IJLi5ELi6ELi7EEEENSH_IJLi8ELi9ELi10EEEEEEENSH_IJLi5ELi6ELi7ELi8ELi9ELi10EEEElEENS_31BlockToCTileMap_M00_N00_M01_N01ILi128ELi128ES10_Lb0EEELb1ELb1EEEvPKT0_S22_PT1_T2_T3_T4_T5_: ; @_ZN2ck19kernel_gemm_dl_v1r3INS_28GridwiseGemmDl_km_kn_mn_v1r3ILi256EfffLNS_25InMemoryDataOperationEnumE0ENS_16TensorDescriptorINS_5TupleIJNS_5EmbedINS4_IJiiEEENS4_IJNS_17integral_constantIiLi1EEEiEEELb0EEENS_7UnMergeINS4_IJiS8_EEELb0EEENS_11PassThroughIiEEEEENS4_IJNS_8SequenceIJLi0EEEENSH_IJLi2EEEENSH_IJLi1EEEEEEENS4_IJNSH_IJLi1ELi2EEEENSH_IJLi3ELi4EEEENSH_IJLi5EEEEEEENSH_IJLi3ELi5ELi4EEEElEENS3_INS4_IJNS5_IS6_SC_Lb0EEESD_SF_EEENS4_IJSI_SK_SJ_EEESP_SQ_lEENS3_INS4_IJSS_SF_SF_EEESU_NS4_IJSM_NSH_IJLi3EEEENSH_IJLi4EEEEEEESN_lEELi128ELi128ELi16ELi1ELi4ELi4ELi1ENSH_IJLi8ELi2EEEES11_NSH_IJLi2ELi1ELi4ELi1EEEENSH_IJLi8ELi1ELi32ELi1EEEENSH_IJLi0ELi3ELi1ELi2EEEES14_NSH_IJLi1ELi1ELi4ELi1EEEES14_S15_S12_S13_S14_S14_S15_S14_S15_NSH_IJLi0ELi1ELi2ELi3ELi4ELi5EEEELi5ELi4EEEffNS3_INS4_IJSA_SD_SF_SF_NSB_INS4_IJiNS7_IiLi128EEEEEELb0EEENSE_IS8_EEEEENS4_IJSI_SJ_SK_SX_SO_SY_EEENS4_IJSM_SN_SO_NSH_IJLi6EEEENSH_IJLi7ELi8EEEENSH_IJLi9EEEEEEENSH_IJLi6ELi7ELi8ELi9EEEElEENS3_INS4_IJSS_SD_SF_SF_S1A_S1B_EEENS4_IJSI_SK_SJ_SX_SO_SY_EEES1H_S1I_lEENS3_INS4_IJSS_SF_SF_NSB_INS4_IJiNS7_IiLi2EEENS7_IiLi64EEEEEELb0EEES1Q_EEENS4_IJSI_SK_SJ_SX_SY_EEENS4_IJSM_SX_SY_NSH_IJLi5ELi6ELi7EEEENSH_IJLi8ELi9ELi10EEEEEEENSH_IJLi5ELi6ELi7ELi8ELi9ELi10EEEElEENS_31BlockToCTileMap_M00_N00_M01_N01ILi128ELi128ES10_Lb0EEELb1ELb1EEEvPKT0_S22_PT1_T2_T3_T4_T5_
; %bb.0:
	s_load_dwordx4 s[8:11], s[4:5], 0x0
	s_load_dwordx2 s[0:1], s[4:5], 0x10
	s_load_dword s7, s[4:5], 0xfc
	s_load_dwordx4 s[12:15], s[4:5], 0x108
	s_load_dwordx4 s[20:23], s[4:5], 0x11c
	;; [unrolled: 1-line block ×3, first 2 shown]
	s_load_dword s19, s[4:5], 0x24
	s_load_dword s28, s[4:5], 0x38
	;; [unrolled: 1-line block ×6, first 2 shown]
	s_load_dwordx2 s[2:3], s[4:5], 0xd0
	s_waitcnt lgkmcnt(0)
	s_load_dword s3, s[4:5], 0xec
                                        ; kill: killed $sgpr4_sgpr5
	s_mul_hi_u32 s4, s23, s6
	s_add_i32 s4, s6, s4
	s_lshr_b32 s4, s4, s27
	s_mul_i32 s5, s4, s15
	s_sub_i32 s5, s6, s5
	s_mul_hi_u32 s6, s4, s22
	s_add_i32 s6, s4, s6
	s_lshr_b32 s6, s6, s26
	s_mul_i32 s14, s6, s14
	s_sub_i32 s4, s4, s14
	;; [unrolled: 5-line block ×4, first 2 shown]
	s_waitcnt lgkmcnt(0)
	s_mul_i32 s12, s12, s3
	s_add_i32 s24, s4, s12
	v_lshlrev_b32_e32 v18, 2, v0
	v_lshrrev_b32_e32 v1, 4, v0
	v_and_b32_e32 v19, 0x7c, v18
	s_lshl_b32 s3, s24, 7
	s_mul_i32 s6, s6, s7
	v_and_b32_e32 v17, 14, v1
	v_or_b32_e32 v1, s3, v19
	s_add_i32 s23, s5, s6
	v_mul_lo_u32 v3, s18, v17
	v_mad_u64_u32 v[1:2], s[4:5], s19, v17, v[1:2]
	s_lshl_b32 s17, s23, 7
	v_add3_u32 v9, v3, v19, s17
	s_lshl_b32 s14, s29, 2
	s_and_b32 s13, s9, 0xffff
	s_mov_b32 s15, 0x20000
	s_mov_b32 s12, s8
	v_lshlrev_b32_e32 v10, 2, v1
	v_add_u32_e32 v80, s19, v1
	s_mov_b32 s6, s14
	s_mov_b32 s5, s13
	v_lshlrev_b32_e32 v11, 2, v80
	buffer_load_dwordx4 v[1:4], v10, s[12:15], 0 offen
	buffer_load_dwordx4 v[5:8], v11, s[12:15], 0 offen
	s_lshl_b32 s14, s30, 2
	s_and_b32 s13, s11, 0xffff
	s_mov_b32 s12, s10
	v_lshlrev_b32_e32 v20, 2, v9
	v_add_u32_e32 v81, s18, v9
	v_lshlrev_b32_e32 v21, 2, v81
	buffer_load_dwordx4 v[9:12], v20, s[12:15], 0 offen
	buffer_load_dwordx4 v[13:16], v21, s[12:15], 0 offen
	v_lshrrev_b32_e32 v20, 5, v0
	v_lshlrev_b32_e32 v21, 1, v0
	v_and_b32_e32 v0, 31, v0
	v_lshlrev_b32_e32 v22, 6, v20
	v_and_b32_e32 v23, 0x1f8, v21
	v_lshlrev_b32_e32 v20, 3, v20
	v_lshlrev_b32_e32 v82, 4, v0
	v_sub_u32_e32 v0, v23, v22
	v_and_or_b32 v96, v21, 4, v20
	v_or_b32_e32 v20, 33, v17
	v_and_or_b32 v97, v18, 4, v0
	v_mul_lo_u32 v0, s18, v20
	v_lshlrev_b32_e32 v19, 2, v19
	v_or_b32_e32 v21, 32, v17
	v_or_b32_e32 v22, 17, v17
	;; [unrolled: 1-line block ×3, first 2 shown]
	v_lshl_or_b32 v100, v17, 9, v19
	s_lshl_b32 s23, s23, 9
	v_mul_lo_u32 v17, s18, v21
	v_mul_lo_u32 v18, s18, v22
	v_mul_lo_u32 v19, s18, v23
	v_mul_lo_u32 v20, s19, v20
	v_lshl_add_u32 v83, v0, 2, s23
	v_mul_lo_u32 v0, s19, v21
	s_mov_b32 s7, s15
	s_mov_b32 s11, s15
	;; [unrolled: 1-line block ×4, first 2 shown]
	s_mul_i32 s15, s18, 15
	s_mul_i32 s20, s19, 15
	s_mov_b32 s10, s14
	s_lshl_b32 s14, s24, 9
	v_lshl_add_u32 v84, v17, 2, s23
	v_lshl_add_u32 v85, v18, 2, s23
	;; [unrolled: 1-line block ×5, first 2 shown]
	s_add_i32 s23, s18, s15
	s_mov_b32 s12, 0
	v_lshlrev_b32_e32 v98, 2, v96
	v_lshlrev_b32_e32 v99, 2, v97
	s_sub_i32 s21, s28, 32
	s_lshl_b32 s22, s18, 7
	s_mov_b32 s9, s13
	s_lshl_b32 s13, s19, 7
	v_mov_b32_e32 v0, 0
	s_add_i32 s23, s23, s23
	v_mov_b32_e32 v17, 0
	v_mov_b32_e32 v18, 0
	;; [unrolled: 1-line block ×7, first 2 shown]
	s_waitcnt vmcnt(3)
	ds_write_b128 v100, v[1:4]
	s_waitcnt vmcnt(2)
	ds_write_b128 v100, v[5:8] offset:512
	s_waitcnt vmcnt(1)
	ds_write_b128 v100, v[9:12] offset:16384
	;; [unrolled: 2-line block ×3, first 2 shown]
	v_mul_lo_u32 v1, s19, v22
	v_mul_lo_u32 v2, s19, v23
	v_mov_b32_e32 v3, 0
	v_mov_b32_e32 v16, 0
	v_lshl_add_u32 v89, v1, 2, s14
	v_lshl_add_u32 v90, v2, 2, s14
	s_add_i32 s14, s19, s20
	s_add_i32 s14, s14, s14
	v_mov_b32_e32 v1, 0
	v_mov_b32_e32 v2, 0
	;; [unrolled: 1-line block ×54, first 2 shown]
.LBB1_1:                                ; =>This Inner Loop Header: Depth=1
	v_add_u32_e32 v64, v82, v90
	v_add_u32_e32 v68, v82, v89
	;; [unrolled: 1-line block ×4, first 2 shown]
	buffer_load_dwordx4 v[64:67], v64, s[4:7], 0 offen
	s_nop 0
	buffer_load_dwordx4 v[68:71], v68, s[4:7], 0 offen
	s_nop 0
	;; [unrolled: 2-line block ×3, first 2 shown]
	buffer_load_dwordx4 v[76:79], v76, s[8:11], 0 offen
	s_waitcnt vmcnt(0) lgkmcnt(0)
	s_barrier
	ds_read_b128 v[101:104], v98
	ds_read_b128 v[105:108], v99 offset:16384
	ds_read_b128 v[109:112], v99 offset:16640
	;; [unrolled: 1-line block ×3, first 2 shown]
	s_waitcnt lgkmcnt(2)
	;;#ASMSTART
	
             v_fmac_f32 v0, v101, v105 
             
	;;#ASMEND
	;;#ASMSTART
	
             v_fmac_f32 v1, v101, v106 
             
	;;#ASMEND
	;; [unrolled: 5-line block ×16, first 2 shown]
	s_waitcnt lgkmcnt(1)
	;;#ASMSTART
	
             v_fmac_f32 v16, v101, v109 
             
	;;#ASMEND
	;;#ASMSTART
	
             v_fmac_f32 v17, v101, v110 
             
	;;#ASMEND
	;; [unrolled: 5-line block ×16, first 2 shown]
	ds_read_b128 v[101:104], v98 offset:512
	s_waitcnt lgkmcnt(1)
	;;#ASMSTART
	
             v_fmac_f32 v4, v113, v105 
             
	;;#ASMEND
	;;#ASMSTART
	
             v_fmac_f32 v5, v113, v106 
             
	;;#ASMEND
	;; [unrolled: 5-line block ×16, first 2 shown]
	ds_read_b128 v[105:108], v99 offset:16896
	;;#ASMSTART
	
             v_fmac_f32 v8, v113, v109 
             
	;;#ASMEND
	;;#ASMSTART
	
             v_fmac_f32 v9, v113, v110 
             
	;;#ASMEND
	;; [unrolled: 5-line block ×16, first 2 shown]
	ds_read_b128 v[109:112], v99 offset:17152
	ds_read_b128 v[113:116], v98 offset:768
	s_waitcnt lgkmcnt(2)
	;;#ASMSTART
	
             v_fmac_f32 v0, v101, v105 
             
	;;#ASMEND
	;;#ASMSTART
	
             v_fmac_f32 v1, v101, v106 
             
	;;#ASMEND
	;;#ASMSTART
	
             v_fmac_f32 v2, v101, v107 
             
	;;#ASMEND
	;;#ASMSTART
	
             v_fmac_f32 v3, v101, v108 
             
	;;#ASMEND
	;;#ASMSTART
	
             v_fmac_f32 v12, v102, v105 
             
	;;#ASMEND
	;;#ASMSTART
	
             v_fmac_f32 v13, v102, v106 
             
	;;#ASMEND
	;;#ASMSTART
	
             v_fmac_f32 v14, v102, v107 
             
	;;#ASMEND
	;;#ASMSTART
	
             v_fmac_f32 v15, v102, v108 
             
	;;#ASMEND
	;;#ASMSTART
	
             v_fmac_f32 v24, v103, v105 
             
	;;#ASMEND
	;;#ASMSTART
	
             v_fmac_f32 v25, v103, v106 
             
	;;#ASMEND
	;;#ASMSTART
	
             v_fmac_f32 v26, v103, v107 
             
	;;#ASMEND
	;;#ASMSTART
	
             v_fmac_f32 v27, v103, v108 
             
	;;#ASMEND
	;;#ASMSTART
	
             v_fmac_f32 v20, v104, v105 
             
	;;#ASMEND
	;;#ASMSTART
	
             v_fmac_f32 v21, v104, v106 
             
	;;#ASMEND
	;;#ASMSTART
	
             v_fmac_f32 v22, v104, v107 
             
	;;#ASMEND
	;;#ASMSTART
	
             v_fmac_f32 v23, v104, v108 
             
	;;#ASMEND
	s_waitcnt lgkmcnt(1)
	;;#ASMSTART
	
             v_fmac_f32 v16, v101, v109 
             
	;;#ASMEND
	;;#ASMSTART
	
             v_fmac_f32 v17, v101, v110 
             
	;;#ASMEND
	;; [unrolled: 5-line block ×16, first 2 shown]
	ds_read_b128 v[101:104], v98 offset:1024
	s_waitcnt lgkmcnt(1)
	;;#ASMSTART
	
             v_fmac_f32 v4, v113, v105 
             
	;;#ASMEND
	;;#ASMSTART
	
             v_fmac_f32 v5, v113, v106 
             
	;;#ASMEND
	;; [unrolled: 5-line block ×16, first 2 shown]
	ds_read_b128 v[105:108], v99 offset:17408
	;;#ASMSTART
	
             v_fmac_f32 v8, v113, v109 
             
	;;#ASMEND
	;;#ASMSTART
	
             v_fmac_f32 v9, v113, v110 
             
	;;#ASMEND
	;; [unrolled: 5-line block ×16, first 2 shown]
	ds_read_b128 v[109:112], v99 offset:17664
	ds_read_b128 v[113:116], v98 offset:1280
	s_waitcnt lgkmcnt(2)
	;;#ASMSTART
	
             v_fmac_f32 v0, v101, v105 
             
	;;#ASMEND
	;;#ASMSTART
	
             v_fmac_f32 v1, v101, v106 
             
	;;#ASMEND
	;; [unrolled: 5-line block ×16, first 2 shown]
	s_waitcnt lgkmcnt(1)
	;;#ASMSTART
	
             v_fmac_f32 v16, v101, v109 
             
	;;#ASMEND
	;;#ASMSTART
	
             v_fmac_f32 v17, v101, v110 
             
	;;#ASMEND
	;;#ASMSTART
	
             v_fmac_f32 v18, v101, v111 
             
	;;#ASMEND
	;;#ASMSTART
	
             v_fmac_f32 v19, v101, v112 
             
	;;#ASMEND
	;;#ASMSTART
	
             v_fmac_f32 v40, v102, v109 
             
	;;#ASMEND
	;;#ASMSTART
	
             v_fmac_f32 v41, v102, v110 
             
	;;#ASMEND
	;;#ASMSTART
	
             v_fmac_f32 v42, v102, v111 
             
	;;#ASMEND
	;;#ASMSTART
	
             v_fmac_f32 v43, v102, v112 
             
	;;#ASMEND
	;;#ASMSTART
	
             v_fmac_f32 v32, v103, v109 
             
	;;#ASMEND
	;;#ASMSTART
	
             v_fmac_f32 v33, v103, v110 
             
	;;#ASMEND
	;;#ASMSTART
	
             v_fmac_f32 v34, v103, v111 
             
	;;#ASMEND
	;;#ASMSTART
	
             v_fmac_f32 v35, v103, v112 
             
	;;#ASMEND
	;;#ASMSTART
	
             v_fmac_f32 v44, v104, v109 
             
	;;#ASMEND
	;;#ASMSTART
	
             v_fmac_f32 v45, v104, v110 
             
	;;#ASMEND
	;;#ASMSTART
	
             v_fmac_f32 v46, v104, v111 
             
	;;#ASMEND
	;;#ASMSTART
	
             v_fmac_f32 v47, v104, v112 
             
	;;#ASMEND
	ds_read_b128 v[101:104], v98 offset:1536
	s_waitcnt lgkmcnt(1)
	;;#ASMSTART
	
             v_fmac_f32 v4, v113, v105 
             
	;;#ASMEND
	;;#ASMSTART
	
             v_fmac_f32 v5, v113, v106 
             
	;;#ASMEND
	;; [unrolled: 5-line block ×16, first 2 shown]
	ds_read_b128 v[105:108], v99 offset:17920
	;;#ASMSTART
	
             v_fmac_f32 v8, v113, v109 
             
	;;#ASMEND
	;;#ASMSTART
	
             v_fmac_f32 v9, v113, v110 
             
	;;#ASMEND
	;; [unrolled: 5-line block ×16, first 2 shown]
	ds_read_b128 v[109:112], v99 offset:18176
	ds_read_b128 v[113:116], v98 offset:1792
	s_waitcnt lgkmcnt(2)
	;;#ASMSTART
	
             v_fmac_f32 v0, v101, v105 
             
	;;#ASMEND
	;;#ASMSTART
	
             v_fmac_f32 v1, v101, v106 
             
	;;#ASMEND
	;;#ASMSTART
	
             v_fmac_f32 v2, v101, v107 
             
	;;#ASMEND
	;;#ASMSTART
	
             v_fmac_f32 v3, v101, v108 
             
	;;#ASMEND
	;;#ASMSTART
	
             v_fmac_f32 v12, v102, v105 
             
	;;#ASMEND
	;;#ASMSTART
	
             v_fmac_f32 v13, v102, v106 
             
	;;#ASMEND
	;;#ASMSTART
	
             v_fmac_f32 v14, v102, v107 
             
	;;#ASMEND
	;;#ASMSTART
	
             v_fmac_f32 v15, v102, v108 
             
	;;#ASMEND
	;;#ASMSTART
	
             v_fmac_f32 v24, v103, v105 
             
	;;#ASMEND
	;;#ASMSTART
	
             v_fmac_f32 v25, v103, v106 
             
	;;#ASMEND
	;;#ASMSTART
	
             v_fmac_f32 v26, v103, v107 
             
	;;#ASMEND
	;;#ASMSTART
	
             v_fmac_f32 v27, v103, v108 
             
	;;#ASMEND
	;;#ASMSTART
	
             v_fmac_f32 v20, v104, v105 
             
	;;#ASMEND
	;;#ASMSTART
	
             v_fmac_f32 v21, v104, v106 
             
	;;#ASMEND
	;;#ASMSTART
	
             v_fmac_f32 v22, v104, v107 
             
	;;#ASMEND
	;;#ASMSTART
	
             v_fmac_f32 v23, v104, v108 
             
	;;#ASMEND
	s_waitcnt lgkmcnt(1)
	;;#ASMSTART
	
             v_fmac_f32 v16, v101, v109 
             
	;;#ASMEND
	;;#ASMSTART
	
             v_fmac_f32 v17, v101, v110 
             
	;;#ASMEND
	;; [unrolled: 5-line block ×16, first 2 shown]
	ds_read_b128 v[101:104], v98 offset:2048
	s_waitcnt lgkmcnt(1)
	;;#ASMSTART
	
             v_fmac_f32 v4, v113, v105 
             
	;;#ASMEND
	;;#ASMSTART
	
             v_fmac_f32 v5, v113, v106 
             
	;;#ASMEND
	;; [unrolled: 5-line block ×16, first 2 shown]
	ds_read_b128 v[105:108], v99 offset:18432
	;;#ASMSTART
	
             v_fmac_f32 v8, v113, v109 
             
	;;#ASMEND
	;;#ASMSTART
	
             v_fmac_f32 v9, v113, v110 
             
	;;#ASMEND
	;; [unrolled: 5-line block ×16, first 2 shown]
	ds_read_b128 v[109:112], v99 offset:18688
	ds_read_b128 v[113:116], v98 offset:2304
	s_waitcnt lgkmcnt(2)
	;;#ASMSTART
	
             v_fmac_f32 v0, v101, v105 
             
	;;#ASMEND
	;;#ASMSTART
	
             v_fmac_f32 v1, v101, v106 
             
	;;#ASMEND
	;;#ASMSTART
	
             v_fmac_f32 v2, v101, v107 
             
	;;#ASMEND
	;;#ASMSTART
	
             v_fmac_f32 v3, v101, v108 
             
	;;#ASMEND
	;;#ASMSTART
	
             v_fmac_f32 v12, v102, v105 
             
	;;#ASMEND
	;;#ASMSTART
	
             v_fmac_f32 v13, v102, v106 
             
	;;#ASMEND
	;;#ASMSTART
	
             v_fmac_f32 v14, v102, v107 
             
	;;#ASMEND
	;;#ASMSTART
	
             v_fmac_f32 v15, v102, v108 
             
	;;#ASMEND
	;;#ASMSTART
	
             v_fmac_f32 v24, v103, v105 
             
	;;#ASMEND
	;;#ASMSTART
	
             v_fmac_f32 v25, v103, v106 
             
	;;#ASMEND
	;;#ASMSTART
	
             v_fmac_f32 v26, v103, v107 
             
	;;#ASMEND
	;;#ASMSTART
	
             v_fmac_f32 v27, v103, v108 
             
	;;#ASMEND
	;;#ASMSTART
	
             v_fmac_f32 v20, v104, v105 
             
	;;#ASMEND
	;;#ASMSTART
	
             v_fmac_f32 v21, v104, v106 
             
	;;#ASMEND
	;;#ASMSTART
	
             v_fmac_f32 v22, v104, v107 
             
	;;#ASMEND
	;;#ASMSTART
	
             v_fmac_f32 v23, v104, v108 
             
	;;#ASMEND
	s_waitcnt lgkmcnt(1)
	;;#ASMSTART
	
             v_fmac_f32 v16, v101, v109 
             
	;;#ASMEND
	;;#ASMSTART
	
             v_fmac_f32 v17, v101, v110 
             
	;;#ASMEND
	;; [unrolled: 5-line block ×16, first 2 shown]
	ds_read_b128 v[101:104], v98 offset:2560
	s_waitcnt lgkmcnt(1)
	;;#ASMSTART
	
             v_fmac_f32 v4, v113, v105 
             
	;;#ASMEND
	;;#ASMSTART
	
             v_fmac_f32 v5, v113, v106 
             
	;;#ASMEND
	;; [unrolled: 5-line block ×16, first 2 shown]
	ds_read_b128 v[105:108], v99 offset:18944
	;;#ASMSTART
	
             v_fmac_f32 v8, v113, v109 
             
	;;#ASMEND
	;;#ASMSTART
	
             v_fmac_f32 v9, v113, v110 
             
	;;#ASMEND
	;; [unrolled: 5-line block ×16, first 2 shown]
	ds_read_b128 v[109:112], v99 offset:19200
	ds_read_b128 v[113:116], v98 offset:2816
	s_waitcnt lgkmcnt(2)
	;;#ASMSTART
	
             v_fmac_f32 v0, v101, v105 
             
	;;#ASMEND
	;;#ASMSTART
	
             v_fmac_f32 v1, v101, v106 
             
	;;#ASMEND
	;; [unrolled: 5-line block ×16, first 2 shown]
	s_waitcnt lgkmcnt(1)
	;;#ASMSTART
	
             v_fmac_f32 v16, v101, v109 
             
	;;#ASMEND
	;;#ASMSTART
	
             v_fmac_f32 v17, v101, v110 
             
	;;#ASMEND
	;; [unrolled: 5-line block ×16, first 2 shown]
	ds_read_b128 v[101:104], v98 offset:3072
	s_waitcnt lgkmcnt(1)
	;;#ASMSTART
	
             v_fmac_f32 v4, v113, v105 
             
	;;#ASMEND
	;;#ASMSTART
	
             v_fmac_f32 v5, v113, v106 
             
	;;#ASMEND
	;; [unrolled: 5-line block ×16, first 2 shown]
	ds_read_b128 v[105:108], v99 offset:19456
	;;#ASMSTART
	
             v_fmac_f32 v8, v113, v109 
             
	;;#ASMEND
	;;#ASMSTART
	
             v_fmac_f32 v9, v113, v110 
             
	;;#ASMEND
	;;#ASMSTART
	
             v_fmac_f32 v10, v113, v111 
             
	;;#ASMEND
	;;#ASMSTART
	
             v_fmac_f32 v11, v113, v112 
             
	;;#ASMEND
	;;#ASMSTART
	
             v_fmac_f32 v36, v114, v109 
             
	;;#ASMEND
	;;#ASMSTART
	
             v_fmac_f32 v37, v114, v110 
             
	;;#ASMEND
	;;#ASMSTART
	
             v_fmac_f32 v38, v114, v111 
             
	;;#ASMEND
	;;#ASMSTART
	
             v_fmac_f32 v39, v114, v112 
             
	;;#ASMEND
	;;#ASMSTART
	
             v_fmac_f32 v52, v115, v109 
             
	;;#ASMEND
	;;#ASMSTART
	
             v_fmac_f32 v53, v115, v110 
             
	;;#ASMEND
	;;#ASMSTART
	
             v_fmac_f32 v54, v115, v111 
             
	;;#ASMEND
	;;#ASMSTART
	
             v_fmac_f32 v55, v115, v112 
             
	;;#ASMEND
	;;#ASMSTART
	
             v_fmac_f32 v60, v116, v109 
             
	;;#ASMEND
	;;#ASMSTART
	
             v_fmac_f32 v61, v116, v110 
             
	;;#ASMEND
	;;#ASMSTART
	
             v_fmac_f32 v62, v116, v111 
             
	;;#ASMEND
	;;#ASMSTART
	
             v_fmac_f32 v63, v116, v112 
             
	;;#ASMEND
	ds_read_b128 v[109:112], v99 offset:19712
	ds_read_b128 v[113:116], v98 offset:3328
	s_waitcnt lgkmcnt(2)
	;;#ASMSTART
	
             v_fmac_f32 v0, v101, v105 
             
	;;#ASMEND
	;;#ASMSTART
	
             v_fmac_f32 v1, v101, v106 
             
	;;#ASMEND
	;;#ASMSTART
	
             v_fmac_f32 v2, v101, v107 
             
	;;#ASMEND
	;;#ASMSTART
	
             v_fmac_f32 v3, v101, v108 
             
	;;#ASMEND
	;;#ASMSTART
	
             v_fmac_f32 v12, v102, v105 
             
	;;#ASMEND
	;;#ASMSTART
	
             v_fmac_f32 v13, v102, v106 
             
	;;#ASMEND
	;;#ASMSTART
	
             v_fmac_f32 v14, v102, v107 
             
	;;#ASMEND
	;;#ASMSTART
	
             v_fmac_f32 v15, v102, v108 
             
	;;#ASMEND
	;;#ASMSTART
	
             v_fmac_f32 v24, v103, v105 
             
	;;#ASMEND
	;;#ASMSTART
	
             v_fmac_f32 v25, v103, v106 
             
	;;#ASMEND
	;;#ASMSTART
	
             v_fmac_f32 v26, v103, v107 
             
	;;#ASMEND
	;;#ASMSTART
	
             v_fmac_f32 v27, v103, v108 
             
	;;#ASMEND
	;;#ASMSTART
	
             v_fmac_f32 v20, v104, v105 
             
	;;#ASMEND
	;;#ASMSTART
	
             v_fmac_f32 v21, v104, v106 
             
	;;#ASMEND
	;;#ASMSTART
	
             v_fmac_f32 v22, v104, v107 
             
	;;#ASMEND
	;;#ASMSTART
	
             v_fmac_f32 v23, v104, v108 
             
	;;#ASMEND
	s_waitcnt lgkmcnt(1)
	;;#ASMSTART
	
             v_fmac_f32 v16, v101, v109 
             
	;;#ASMEND
	;;#ASMSTART
	
             v_fmac_f32 v17, v101, v110 
             
	;;#ASMEND
	;; [unrolled: 5-line block ×16, first 2 shown]
	ds_read_b128 v[101:104], v98 offset:3584
	s_waitcnt lgkmcnt(1)
	;;#ASMSTART
	
             v_fmac_f32 v4, v113, v105 
             
	;;#ASMEND
	;;#ASMSTART
	
             v_fmac_f32 v5, v113, v106 
             
	;;#ASMEND
	;; [unrolled: 5-line block ×16, first 2 shown]
	ds_read_b128 v[105:108], v99 offset:19968
	;;#ASMSTART
	
             v_fmac_f32 v8, v113, v109 
             
	;;#ASMEND
	;;#ASMSTART
	
             v_fmac_f32 v9, v113, v110 
             
	;;#ASMEND
	;; [unrolled: 5-line block ×16, first 2 shown]
	ds_read_b128 v[109:112], v99 offset:20224
	ds_read_b128 v[113:116], v98 offset:3840
	s_waitcnt lgkmcnt(2)
	;;#ASMSTART
	
             v_fmac_f32 v0, v101, v105 
             
	;;#ASMEND
	;;#ASMSTART
	
             v_fmac_f32 v1, v101, v106 
             
	;;#ASMEND
	;; [unrolled: 5-line block ×16, first 2 shown]
	s_waitcnt lgkmcnt(1)
	;;#ASMSTART
	
             v_fmac_f32 v16, v101, v109 
             
	;;#ASMEND
	;;#ASMSTART
	
             v_fmac_f32 v17, v101, v110 
             
	;;#ASMEND
	;; [unrolled: 5-line block ×16, first 2 shown]
	ds_read_b128 v[101:104], v98 offset:4096
	s_waitcnt lgkmcnt(1)
	;;#ASMSTART
	
             v_fmac_f32 v4, v113, v105 
             
	;;#ASMEND
	;;#ASMSTART
	
             v_fmac_f32 v5, v113, v106 
             
	;;#ASMEND
	;; [unrolled: 5-line block ×16, first 2 shown]
	ds_read_b128 v[105:108], v99 offset:20480
	;;#ASMSTART
	
             v_fmac_f32 v8, v113, v109 
             
	;;#ASMEND
	;;#ASMSTART
	
             v_fmac_f32 v9, v113, v110 
             
	;;#ASMEND
	;; [unrolled: 5-line block ×16, first 2 shown]
	ds_read_b128 v[109:112], v99 offset:20736
	ds_read_b128 v[113:116], v98 offset:4352
	s_waitcnt lgkmcnt(2)
	;;#ASMSTART
	
             v_fmac_f32 v0, v101, v105 
             
	;;#ASMEND
	;;#ASMSTART
	
             v_fmac_f32 v1, v101, v106 
             
	;;#ASMEND
	;; [unrolled: 5-line block ×16, first 2 shown]
	s_waitcnt lgkmcnt(1)
	;;#ASMSTART
	
             v_fmac_f32 v16, v101, v109 
             
	;;#ASMEND
	;;#ASMSTART
	
             v_fmac_f32 v17, v101, v110 
             
	;;#ASMEND
	;; [unrolled: 5-line block ×16, first 2 shown]
	ds_read_b128 v[101:104], v98 offset:4608
	s_waitcnt lgkmcnt(1)
	;;#ASMSTART
	
             v_fmac_f32 v4, v113, v105 
             
	;;#ASMEND
	;;#ASMSTART
	
             v_fmac_f32 v5, v113, v106 
             
	;;#ASMEND
	;; [unrolled: 5-line block ×16, first 2 shown]
	ds_read_b128 v[105:108], v99 offset:20992
	;;#ASMSTART
	
             v_fmac_f32 v8, v113, v109 
             
	;;#ASMEND
	;;#ASMSTART
	
             v_fmac_f32 v9, v113, v110 
             
	;;#ASMEND
	;; [unrolled: 5-line block ×16, first 2 shown]
	ds_read_b128 v[109:112], v99 offset:21248
	ds_read_b128 v[113:116], v98 offset:4864
	s_waitcnt lgkmcnt(2)
	;;#ASMSTART
	
             v_fmac_f32 v0, v101, v105 
             
	;;#ASMEND
	;;#ASMSTART
	
             v_fmac_f32 v1, v101, v106 
             
	;;#ASMEND
	;; [unrolled: 5-line block ×16, first 2 shown]
	s_waitcnt lgkmcnt(1)
	;;#ASMSTART
	
             v_fmac_f32 v16, v101, v109 
             
	;;#ASMEND
	;;#ASMSTART
	
             v_fmac_f32 v17, v101, v110 
             
	;;#ASMEND
	;; [unrolled: 5-line block ×16, first 2 shown]
	ds_read_b128 v[101:104], v98 offset:5120
	s_waitcnt lgkmcnt(1)
	;;#ASMSTART
	
             v_fmac_f32 v4, v113, v105 
             
	;;#ASMEND
	;;#ASMSTART
	
             v_fmac_f32 v5, v113, v106 
             
	;;#ASMEND
	;; [unrolled: 5-line block ×16, first 2 shown]
	ds_read_b128 v[105:108], v99 offset:21504
	;;#ASMSTART
	
             v_fmac_f32 v8, v113, v109 
             
	;;#ASMEND
	;;#ASMSTART
	
             v_fmac_f32 v9, v113, v110 
             
	;;#ASMEND
	;; [unrolled: 5-line block ×16, first 2 shown]
	ds_read_b128 v[109:112], v99 offset:21760
	ds_read_b128 v[113:116], v98 offset:5376
	s_waitcnt lgkmcnt(2)
	;;#ASMSTART
	
             v_fmac_f32 v0, v101, v105 
             
	;;#ASMEND
	;;#ASMSTART
	
             v_fmac_f32 v1, v101, v106 
             
	;;#ASMEND
	;; [unrolled: 5-line block ×16, first 2 shown]
	s_waitcnt lgkmcnt(1)
	;;#ASMSTART
	
             v_fmac_f32 v16, v101, v109 
             
	;;#ASMEND
	;;#ASMSTART
	
             v_fmac_f32 v17, v101, v110 
             
	;;#ASMEND
	;; [unrolled: 5-line block ×16, first 2 shown]
	ds_read_b128 v[101:104], v98 offset:5632
	s_waitcnt lgkmcnt(1)
	;;#ASMSTART
	
             v_fmac_f32 v4, v113, v105 
             
	;;#ASMEND
	;;#ASMSTART
	
             v_fmac_f32 v5, v113, v106 
             
	;;#ASMEND
	;; [unrolled: 5-line block ×16, first 2 shown]
	ds_read_b128 v[105:108], v99 offset:22016
	;;#ASMSTART
	
             v_fmac_f32 v8, v113, v109 
             
	;;#ASMEND
	;;#ASMSTART
	
             v_fmac_f32 v9, v113, v110 
             
	;;#ASMEND
	;; [unrolled: 5-line block ×16, first 2 shown]
	ds_read_b128 v[109:112], v99 offset:22272
	ds_read_b128 v[113:116], v98 offset:5888
	s_waitcnt lgkmcnt(2)
	;;#ASMSTART
	
             v_fmac_f32 v0, v101, v105 
             
	;;#ASMEND
	;;#ASMSTART
	
             v_fmac_f32 v1, v101, v106 
             
	;;#ASMEND
	;; [unrolled: 5-line block ×16, first 2 shown]
	s_waitcnt lgkmcnt(1)
	;;#ASMSTART
	
             v_fmac_f32 v16, v101, v109 
             
	;;#ASMEND
	;;#ASMSTART
	
             v_fmac_f32 v17, v101, v110 
             
	;;#ASMEND
	;; [unrolled: 5-line block ×16, first 2 shown]
	ds_read_b128 v[101:104], v98 offset:6144
	s_waitcnt lgkmcnt(1)
	;;#ASMSTART
	
             v_fmac_f32 v4, v113, v105 
             
	;;#ASMEND
	;;#ASMSTART
	
             v_fmac_f32 v5, v113, v106 
             
	;;#ASMEND
	;; [unrolled: 5-line block ×16, first 2 shown]
	ds_read_b128 v[105:108], v99 offset:22528
	;;#ASMSTART
	
             v_fmac_f32 v8, v113, v109 
             
	;;#ASMEND
	;;#ASMSTART
	
             v_fmac_f32 v9, v113, v110 
             
	;;#ASMEND
	;; [unrolled: 5-line block ×16, first 2 shown]
	ds_read_b128 v[109:112], v99 offset:22784
	ds_read_b128 v[113:116], v98 offset:6400
	s_waitcnt lgkmcnt(2)
	;;#ASMSTART
	
             v_fmac_f32 v0, v101, v105 
             
	;;#ASMEND
	;;#ASMSTART
	
             v_fmac_f32 v1, v101, v106 
             
	;;#ASMEND
	;; [unrolled: 5-line block ×16, first 2 shown]
	s_waitcnt lgkmcnt(1)
	;;#ASMSTART
	
             v_fmac_f32 v16, v101, v109 
             
	;;#ASMEND
	;;#ASMSTART
	
             v_fmac_f32 v17, v101, v110 
             
	;;#ASMEND
	;; [unrolled: 5-line block ×16, first 2 shown]
	ds_read_b128 v[101:104], v98 offset:6656
	s_waitcnt lgkmcnt(1)
	;;#ASMSTART
	
             v_fmac_f32 v4, v113, v105 
             
	;;#ASMEND
	;;#ASMSTART
	
             v_fmac_f32 v5, v113, v106 
             
	;;#ASMEND
	;; [unrolled: 5-line block ×16, first 2 shown]
	ds_read_b128 v[105:108], v99 offset:23040
	;;#ASMSTART
	
             v_fmac_f32 v8, v113, v109 
             
	;;#ASMEND
	;;#ASMSTART
	
             v_fmac_f32 v9, v113, v110 
             
	;;#ASMEND
	;; [unrolled: 5-line block ×16, first 2 shown]
	ds_read_b128 v[109:112], v99 offset:23296
	ds_read_b128 v[113:116], v98 offset:6912
	s_waitcnt lgkmcnt(2)
	;;#ASMSTART
	
             v_fmac_f32 v0, v101, v105 
             
	;;#ASMEND
	;;#ASMSTART
	
             v_fmac_f32 v1, v101, v106 
             
	;;#ASMEND
	;; [unrolled: 5-line block ×16, first 2 shown]
	s_waitcnt lgkmcnt(1)
	;;#ASMSTART
	
             v_fmac_f32 v16, v101, v109 
             
	;;#ASMEND
	;;#ASMSTART
	
             v_fmac_f32 v17, v101, v110 
             
	;;#ASMEND
	;; [unrolled: 5-line block ×16, first 2 shown]
	ds_read_b128 v[101:104], v98 offset:7168
	s_waitcnt lgkmcnt(1)
	;;#ASMSTART
	
             v_fmac_f32 v4, v113, v105 
             
	;;#ASMEND
	;;#ASMSTART
	
             v_fmac_f32 v5, v113, v106 
             
	;;#ASMEND
	;; [unrolled: 5-line block ×16, first 2 shown]
	ds_read_b128 v[105:108], v99 offset:23552
	;;#ASMSTART
	
             v_fmac_f32 v8, v113, v109 
             
	;;#ASMEND
	;;#ASMSTART
	
             v_fmac_f32 v9, v113, v110 
             
	;;#ASMEND
	;; [unrolled: 5-line block ×16, first 2 shown]
	ds_read_b128 v[109:112], v99 offset:23808
	ds_read_b128 v[113:116], v98 offset:7424
	s_waitcnt lgkmcnt(2)
	;;#ASMSTART
	
             v_fmac_f32 v0, v101, v105 
             
	;;#ASMEND
	;;#ASMSTART
	
             v_fmac_f32 v1, v101, v106 
             
	;;#ASMEND
	;; [unrolled: 5-line block ×16, first 2 shown]
	s_waitcnt lgkmcnt(1)
	;;#ASMSTART
	
             v_fmac_f32 v16, v101, v109 
             
	;;#ASMEND
	;;#ASMSTART
	
             v_fmac_f32 v17, v101, v110 
             
	;;#ASMEND
	;; [unrolled: 5-line block ×16, first 2 shown]
	ds_read_b128 v[101:104], v98 offset:7680
	s_waitcnt lgkmcnt(1)
	;;#ASMSTART
	
             v_fmac_f32 v4, v113, v105 
             
	;;#ASMEND
	;;#ASMSTART
	
             v_fmac_f32 v5, v113, v106 
             
	;;#ASMEND
	;; [unrolled: 5-line block ×16, first 2 shown]
	ds_read_b128 v[105:108], v99 offset:24064
	;;#ASMSTART
	
             v_fmac_f32 v8, v113, v109 
             
	;;#ASMEND
	;;#ASMSTART
	
             v_fmac_f32 v9, v113, v110 
             
	;;#ASMEND
	;; [unrolled: 5-line block ×16, first 2 shown]
	ds_read_b128 v[109:112], v99 offset:24320
	ds_read_b128 v[113:116], v98 offset:7936
	v_add_u32_e32 v91, v82, v88
	v_add_u32_e32 v92, v82, v87
	;; [unrolled: 1-line block ×4, first 2 shown]
	s_waitcnt lgkmcnt(2)
	;;#ASMSTART
	
             v_fmac_f32 v0, v101, v105 
             
	;;#ASMEND
	;;#ASMSTART
	
             v_fmac_f32 v1, v101, v106 
             
	;;#ASMEND
	;; [unrolled: 5-line block ×16, first 2 shown]
	s_waitcnt lgkmcnt(1)
	;;#ASMSTART
	
             v_fmac_f32 v16, v101, v109 
             
	;;#ASMEND
	;;#ASMSTART
	
             v_fmac_f32 v17, v101, v110 
             
	;;#ASMEND
	;; [unrolled: 5-line block ×16, first 2 shown]
	s_waitcnt lgkmcnt(0)
	;;#ASMSTART
	
             v_fmac_f32 v4, v113, v105 
             
	;;#ASMEND
	;;#ASMSTART
	
             v_fmac_f32 v5, v113, v106 
             
	;;#ASMEND
	;; [unrolled: 5-line block ×32, first 2 shown]
	ds_write_b128 v100, v[64:67] offset:8192
	ds_write_b128 v100, v[68:71] offset:8704
	ds_write_b128 v100, v[72:75] offset:24576
	ds_write_b128 v100, v[76:79] offset:25088
	buffer_load_dwordx4 v[64:67], v91, s[4:7], 0 offen
	buffer_load_dwordx4 v[68:71], v92, s[4:7], 0 offen
	;; [unrolled: 1-line block ×4, first 2 shown]
	s_waitcnt vmcnt(0) lgkmcnt(0)
	s_barrier
	ds_read_b128 v[91:94], v98 offset:8192
	ds_read_b128 v[101:104], v99 offset:24576
	;; [unrolled: 1-line block ×4, first 2 shown]
	s_waitcnt lgkmcnt(2)
	;;#ASMSTART
	
             v_fmac_f32 v0, v91, v101 
             
	;;#ASMEND
	;;#ASMSTART
	
             v_fmac_f32 v1, v91, v102 
             
	;;#ASMEND
	;; [unrolled: 5-line block ×16, first 2 shown]
	s_waitcnt lgkmcnt(1)
	;;#ASMSTART
	
             v_fmac_f32 v16, v91, v105 
             
	;;#ASMEND
	;;#ASMSTART
	
             v_fmac_f32 v17, v91, v106 
             
	;;#ASMEND
	;; [unrolled: 5-line block ×16, first 2 shown]
	ds_read_b128 v[91:94], v98 offset:8704
	s_waitcnt lgkmcnt(1)
	;;#ASMSTART
	
             v_fmac_f32 v4, v109, v101 
             
	;;#ASMEND
	;;#ASMSTART
	
             v_fmac_f32 v5, v109, v102 
             
	;;#ASMEND
	;; [unrolled: 5-line block ×16, first 2 shown]
	ds_read_b128 v[101:104], v99 offset:25088
	;;#ASMSTART
	
             v_fmac_f32 v8, v109, v105 
             
	;;#ASMEND
	;;#ASMSTART
	
             v_fmac_f32 v9, v109, v106 
             
	;;#ASMEND
	;; [unrolled: 5-line block ×16, first 2 shown]
	ds_read_b128 v[105:108], v99 offset:25344
	ds_read_b128 v[109:112], v98 offset:8960
	s_waitcnt lgkmcnt(2)
	;;#ASMSTART
	
             v_fmac_f32 v0, v91, v101 
             
	;;#ASMEND
	;;#ASMSTART
	
             v_fmac_f32 v1, v91, v102 
             
	;;#ASMEND
	;; [unrolled: 5-line block ×16, first 2 shown]
	s_waitcnt lgkmcnt(1)
	;;#ASMSTART
	
             v_fmac_f32 v16, v91, v105 
             
	;;#ASMEND
	;;#ASMSTART
	
             v_fmac_f32 v17, v91, v106 
             
	;;#ASMEND
	;; [unrolled: 5-line block ×16, first 2 shown]
	ds_read_b128 v[91:94], v98 offset:9216
	s_waitcnt lgkmcnt(1)
	;;#ASMSTART
	
             v_fmac_f32 v4, v109, v101 
             
	;;#ASMEND
	;;#ASMSTART
	
             v_fmac_f32 v5, v109, v102 
             
	;;#ASMEND
	;; [unrolled: 5-line block ×16, first 2 shown]
	ds_read_b128 v[101:104], v99 offset:25600
	;;#ASMSTART
	
             v_fmac_f32 v8, v109, v105 
             
	;;#ASMEND
	;;#ASMSTART
	
             v_fmac_f32 v9, v109, v106 
             
	;;#ASMEND
	;; [unrolled: 5-line block ×16, first 2 shown]
	ds_read_b128 v[105:108], v99 offset:25856
	ds_read_b128 v[109:112], v98 offset:9472
	s_waitcnt lgkmcnt(2)
	;;#ASMSTART
	
             v_fmac_f32 v0, v91, v101 
             
	;;#ASMEND
	;;#ASMSTART
	
             v_fmac_f32 v1, v91, v102 
             
	;;#ASMEND
	;; [unrolled: 5-line block ×16, first 2 shown]
	s_waitcnt lgkmcnt(1)
	;;#ASMSTART
	
             v_fmac_f32 v16, v91, v105 
             
	;;#ASMEND
	;;#ASMSTART
	
             v_fmac_f32 v17, v91, v106 
             
	;;#ASMEND
	;; [unrolled: 5-line block ×16, first 2 shown]
	ds_read_b128 v[91:94], v98 offset:9728
	s_waitcnt lgkmcnt(1)
	;;#ASMSTART
	
             v_fmac_f32 v4, v109, v101 
             
	;;#ASMEND
	;;#ASMSTART
	
             v_fmac_f32 v5, v109, v102 
             
	;;#ASMEND
	;; [unrolled: 5-line block ×16, first 2 shown]
	ds_read_b128 v[101:104], v99 offset:26112
	;;#ASMSTART
	
             v_fmac_f32 v8, v109, v105 
             
	;;#ASMEND
	;;#ASMSTART
	
             v_fmac_f32 v9, v109, v106 
             
	;;#ASMEND
	;;#ASMSTART
	
             v_fmac_f32 v10, v109, v107 
             
	;;#ASMEND
	;;#ASMSTART
	
             v_fmac_f32 v11, v109, v108 
             
	;;#ASMEND
	;;#ASMSTART
	
             v_fmac_f32 v36, v110, v105 
             
	;;#ASMEND
	;;#ASMSTART
	
             v_fmac_f32 v37, v110, v106 
             
	;;#ASMEND
	;;#ASMSTART
	
             v_fmac_f32 v38, v110, v107 
             
	;;#ASMEND
	;;#ASMSTART
	
             v_fmac_f32 v39, v110, v108 
             
	;;#ASMEND
	;;#ASMSTART
	
             v_fmac_f32 v52, v111, v105 
             
	;;#ASMEND
	;;#ASMSTART
	
             v_fmac_f32 v53, v111, v106 
             
	;;#ASMEND
	;;#ASMSTART
	
             v_fmac_f32 v54, v111, v107 
             
	;;#ASMEND
	;;#ASMSTART
	
             v_fmac_f32 v55, v111, v108 
             
	;;#ASMEND
	;;#ASMSTART
	
             v_fmac_f32 v60, v112, v105 
             
	;;#ASMEND
	;;#ASMSTART
	
             v_fmac_f32 v61, v112, v106 
             
	;;#ASMEND
	;;#ASMSTART
	
             v_fmac_f32 v62, v112, v107 
             
	;;#ASMEND
	;;#ASMSTART
	
             v_fmac_f32 v63, v112, v108 
             
	;;#ASMEND
	ds_read_b128 v[105:108], v99 offset:26368
	ds_read_b128 v[109:112], v98 offset:9984
	s_waitcnt lgkmcnt(2)
	;;#ASMSTART
	
             v_fmac_f32 v0, v91, v101 
             
	;;#ASMEND
	;;#ASMSTART
	
             v_fmac_f32 v1, v91, v102 
             
	;;#ASMEND
	;; [unrolled: 5-line block ×16, first 2 shown]
	s_waitcnt lgkmcnt(1)
	;;#ASMSTART
	
             v_fmac_f32 v16, v91, v105 
             
	;;#ASMEND
	;;#ASMSTART
	
             v_fmac_f32 v17, v91, v106 
             
	;;#ASMEND
	;; [unrolled: 5-line block ×16, first 2 shown]
	ds_read_b128 v[91:94], v98 offset:10240
	s_waitcnt lgkmcnt(1)
	;;#ASMSTART
	
             v_fmac_f32 v4, v109, v101 
             
	;;#ASMEND
	;;#ASMSTART
	
             v_fmac_f32 v5, v109, v102 
             
	;;#ASMEND
	;; [unrolled: 5-line block ×16, first 2 shown]
	ds_read_b128 v[101:104], v99 offset:26624
	;;#ASMSTART
	
             v_fmac_f32 v8, v109, v105 
             
	;;#ASMEND
	;;#ASMSTART
	
             v_fmac_f32 v9, v109, v106 
             
	;;#ASMEND
	;; [unrolled: 5-line block ×16, first 2 shown]
	ds_read_b128 v[105:108], v99 offset:26880
	ds_read_b128 v[109:112], v98 offset:10496
	s_waitcnt lgkmcnt(2)
	;;#ASMSTART
	
             v_fmac_f32 v0, v91, v101 
             
	;;#ASMEND
	;;#ASMSTART
	
             v_fmac_f32 v1, v91, v102 
             
	;;#ASMEND
	;; [unrolled: 5-line block ×16, first 2 shown]
	s_waitcnt lgkmcnt(1)
	;;#ASMSTART
	
             v_fmac_f32 v16, v91, v105 
             
	;;#ASMEND
	;;#ASMSTART
	
             v_fmac_f32 v17, v91, v106 
             
	;;#ASMEND
	;; [unrolled: 5-line block ×16, first 2 shown]
	ds_read_b128 v[91:94], v98 offset:10752
	s_waitcnt lgkmcnt(1)
	;;#ASMSTART
	
             v_fmac_f32 v4, v109, v101 
             
	;;#ASMEND
	;;#ASMSTART
	
             v_fmac_f32 v5, v109, v102 
             
	;;#ASMEND
	;;#ASMSTART
	
             v_fmac_f32 v6, v109, v103 
             
	;;#ASMEND
	;;#ASMSTART
	
             v_fmac_f32 v7, v109, v104 
             
	;;#ASMEND
	;;#ASMSTART
	
             v_fmac_f32 v28, v110, v101 
             
	;;#ASMEND
	;;#ASMSTART
	
             v_fmac_f32 v29, v110, v102 
             
	;;#ASMEND
	;;#ASMSTART
	
             v_fmac_f32 v30, v110, v103 
             
	;;#ASMEND
	;;#ASMSTART
	
             v_fmac_f32 v31, v110, v104 
             
	;;#ASMEND
	;;#ASMSTART
	
             v_fmac_f32 v48, v111, v101 
             
	;;#ASMEND
	;;#ASMSTART
	
             v_fmac_f32 v49, v111, v102 
             
	;;#ASMEND
	;;#ASMSTART
	
             v_fmac_f32 v50, v111, v103 
             
	;;#ASMEND
	;;#ASMSTART
	
             v_fmac_f32 v51, v111, v104 
             
	;;#ASMEND
	;;#ASMSTART
	
             v_fmac_f32 v56, v112, v101 
             
	;;#ASMEND
	;;#ASMSTART
	
             v_fmac_f32 v57, v112, v102 
             
	;;#ASMEND
	;;#ASMSTART
	
             v_fmac_f32 v58, v112, v103 
             
	;;#ASMEND
	;;#ASMSTART
	
             v_fmac_f32 v59, v112, v104 
             
	;;#ASMEND
	ds_read_b128 v[101:104], v99 offset:27136
	;;#ASMSTART
	
             v_fmac_f32 v8, v109, v105 
             
	;;#ASMEND
	;;#ASMSTART
	
             v_fmac_f32 v9, v109, v106 
             
	;;#ASMEND
	;; [unrolled: 5-line block ×16, first 2 shown]
	ds_read_b128 v[105:108], v99 offset:27392
	ds_read_b128 v[109:112], v98 offset:11008
	s_waitcnt lgkmcnt(2)
	;;#ASMSTART
	
             v_fmac_f32 v0, v91, v101 
             
	;;#ASMEND
	;;#ASMSTART
	
             v_fmac_f32 v1, v91, v102 
             
	;;#ASMEND
	;; [unrolled: 5-line block ×16, first 2 shown]
	s_waitcnt lgkmcnt(1)
	;;#ASMSTART
	
             v_fmac_f32 v16, v91, v105 
             
	;;#ASMEND
	;;#ASMSTART
	
             v_fmac_f32 v17, v91, v106 
             
	;;#ASMEND
	;; [unrolled: 5-line block ×16, first 2 shown]
	ds_read_b128 v[91:94], v98 offset:11264
	s_waitcnt lgkmcnt(1)
	;;#ASMSTART
	
             v_fmac_f32 v4, v109, v101 
             
	;;#ASMEND
	;;#ASMSTART
	
             v_fmac_f32 v5, v109, v102 
             
	;;#ASMEND
	;; [unrolled: 5-line block ×16, first 2 shown]
	ds_read_b128 v[101:104], v99 offset:27648
	;;#ASMSTART
	
             v_fmac_f32 v8, v109, v105 
             
	;;#ASMEND
	;;#ASMSTART
	
             v_fmac_f32 v9, v109, v106 
             
	;;#ASMEND
	;; [unrolled: 5-line block ×16, first 2 shown]
	ds_read_b128 v[105:108], v99 offset:27904
	ds_read_b128 v[109:112], v98 offset:11520
	s_waitcnt lgkmcnt(2)
	;;#ASMSTART
	
             v_fmac_f32 v0, v91, v101 
             
	;;#ASMEND
	;;#ASMSTART
	
             v_fmac_f32 v1, v91, v102 
             
	;;#ASMEND
	;; [unrolled: 5-line block ×16, first 2 shown]
	s_waitcnt lgkmcnt(1)
	;;#ASMSTART
	
             v_fmac_f32 v16, v91, v105 
             
	;;#ASMEND
	;;#ASMSTART
	
             v_fmac_f32 v17, v91, v106 
             
	;;#ASMEND
	;;#ASMSTART
	
             v_fmac_f32 v18, v91, v107 
             
	;;#ASMEND
	;;#ASMSTART
	
             v_fmac_f32 v19, v91, v108 
             
	;;#ASMEND
	;;#ASMSTART
	
             v_fmac_f32 v40, v92, v105 
             
	;;#ASMEND
	;;#ASMSTART
	
             v_fmac_f32 v41, v92, v106 
             
	;;#ASMEND
	;;#ASMSTART
	
             v_fmac_f32 v42, v92, v107 
             
	;;#ASMEND
	;;#ASMSTART
	
             v_fmac_f32 v43, v92, v108 
             
	;;#ASMEND
	;;#ASMSTART
	
             v_fmac_f32 v32, v93, v105 
             
	;;#ASMEND
	;;#ASMSTART
	
             v_fmac_f32 v33, v93, v106 
             
	;;#ASMEND
	;;#ASMSTART
	
             v_fmac_f32 v34, v93, v107 
             
	;;#ASMEND
	;;#ASMSTART
	
             v_fmac_f32 v35, v93, v108 
             
	;;#ASMEND
	;;#ASMSTART
	
             v_fmac_f32 v44, v94, v105 
             
	;;#ASMEND
	;;#ASMSTART
	
             v_fmac_f32 v45, v94, v106 
             
	;;#ASMEND
	;;#ASMSTART
	
             v_fmac_f32 v46, v94, v107 
             
	;;#ASMEND
	;;#ASMSTART
	
             v_fmac_f32 v47, v94, v108 
             
	;;#ASMEND
	ds_read_b128 v[91:94], v98 offset:11776
	s_waitcnt lgkmcnt(1)
	;;#ASMSTART
	
             v_fmac_f32 v4, v109, v101 
             
	;;#ASMEND
	;;#ASMSTART
	
             v_fmac_f32 v5, v109, v102 
             
	;;#ASMEND
	;;#ASMSTART
	
             v_fmac_f32 v6, v109, v103 
             
	;;#ASMEND
	;;#ASMSTART
	
             v_fmac_f32 v7, v109, v104 
             
	;;#ASMEND
	;;#ASMSTART
	
             v_fmac_f32 v28, v110, v101 
             
	;;#ASMEND
	;;#ASMSTART
	
             v_fmac_f32 v29, v110, v102 
             
	;;#ASMEND
	;;#ASMSTART
	
             v_fmac_f32 v30, v110, v103 
             
	;;#ASMEND
	;;#ASMSTART
	
             v_fmac_f32 v31, v110, v104 
             
	;;#ASMEND
	;;#ASMSTART
	
             v_fmac_f32 v48, v111, v101 
             
	;;#ASMEND
	;;#ASMSTART
	
             v_fmac_f32 v49, v111, v102 
             
	;;#ASMEND
	;;#ASMSTART
	
             v_fmac_f32 v50, v111, v103 
             
	;;#ASMEND
	;;#ASMSTART
	
             v_fmac_f32 v51, v111, v104 
             
	;;#ASMEND
	;;#ASMSTART
	
             v_fmac_f32 v56, v112, v101 
             
	;;#ASMEND
	;;#ASMSTART
	
             v_fmac_f32 v57, v112, v102 
             
	;;#ASMEND
	;;#ASMSTART
	
             v_fmac_f32 v58, v112, v103 
             
	;;#ASMEND
	;;#ASMSTART
	
             v_fmac_f32 v59, v112, v104 
             
	;;#ASMEND
	ds_read_b128 v[101:104], v99 offset:28160
	;;#ASMSTART
	
             v_fmac_f32 v8, v109, v105 
             
	;;#ASMEND
	;;#ASMSTART
	
             v_fmac_f32 v9, v109, v106 
             
	;;#ASMEND
	;; [unrolled: 5-line block ×16, first 2 shown]
	ds_read_b128 v[105:108], v99 offset:28416
	ds_read_b128 v[109:112], v98 offset:12032
	s_waitcnt lgkmcnt(2)
	;;#ASMSTART
	
             v_fmac_f32 v0, v91, v101 
             
	;;#ASMEND
	;;#ASMSTART
	
             v_fmac_f32 v1, v91, v102 
             
	;;#ASMEND
	;; [unrolled: 5-line block ×16, first 2 shown]
	s_waitcnt lgkmcnt(1)
	;;#ASMSTART
	
             v_fmac_f32 v16, v91, v105 
             
	;;#ASMEND
	;;#ASMSTART
	
             v_fmac_f32 v17, v91, v106 
             
	;;#ASMEND
	;; [unrolled: 5-line block ×16, first 2 shown]
	ds_read_b128 v[91:94], v98 offset:12288
	s_waitcnt lgkmcnt(1)
	;;#ASMSTART
	
             v_fmac_f32 v4, v109, v101 
             
	;;#ASMEND
	;;#ASMSTART
	
             v_fmac_f32 v5, v109, v102 
             
	;;#ASMEND
	;; [unrolled: 5-line block ×16, first 2 shown]
	ds_read_b128 v[101:104], v99 offset:28672
	;;#ASMSTART
	
             v_fmac_f32 v8, v109, v105 
             
	;;#ASMEND
	;;#ASMSTART
	
             v_fmac_f32 v9, v109, v106 
             
	;;#ASMEND
	;; [unrolled: 5-line block ×16, first 2 shown]
	ds_read_b128 v[105:108], v99 offset:28928
	ds_read_b128 v[109:112], v98 offset:12544
	s_waitcnt lgkmcnt(2)
	;;#ASMSTART
	
             v_fmac_f32 v0, v91, v101 
             
	;;#ASMEND
	;;#ASMSTART
	
             v_fmac_f32 v1, v91, v102 
             
	;;#ASMEND
	;; [unrolled: 5-line block ×16, first 2 shown]
	s_waitcnt lgkmcnt(1)
	;;#ASMSTART
	
             v_fmac_f32 v16, v91, v105 
             
	;;#ASMEND
	;;#ASMSTART
	
             v_fmac_f32 v17, v91, v106 
             
	;;#ASMEND
	;; [unrolled: 5-line block ×16, first 2 shown]
	ds_read_b128 v[91:94], v98 offset:12800
	s_waitcnt lgkmcnt(1)
	;;#ASMSTART
	
             v_fmac_f32 v4, v109, v101 
             
	;;#ASMEND
	;;#ASMSTART
	
             v_fmac_f32 v5, v109, v102 
             
	;;#ASMEND
	;; [unrolled: 5-line block ×16, first 2 shown]
	ds_read_b128 v[101:104], v99 offset:29184
	;;#ASMSTART
	
             v_fmac_f32 v8, v109, v105 
             
	;;#ASMEND
	;;#ASMSTART
	
             v_fmac_f32 v9, v109, v106 
             
	;;#ASMEND
	;; [unrolled: 5-line block ×16, first 2 shown]
	ds_read_b128 v[105:108], v99 offset:29440
	ds_read_b128 v[109:112], v98 offset:13056
	s_waitcnt lgkmcnt(2)
	;;#ASMSTART
	
             v_fmac_f32 v0, v91, v101 
             
	;;#ASMEND
	;;#ASMSTART
	
             v_fmac_f32 v1, v91, v102 
             
	;;#ASMEND
	;; [unrolled: 5-line block ×16, first 2 shown]
	s_waitcnt lgkmcnt(1)
	;;#ASMSTART
	
             v_fmac_f32 v16, v91, v105 
             
	;;#ASMEND
	;;#ASMSTART
	
             v_fmac_f32 v17, v91, v106 
             
	;;#ASMEND
	;;#ASMSTART
	
             v_fmac_f32 v18, v91, v107 
             
	;;#ASMEND
	;;#ASMSTART
	
             v_fmac_f32 v19, v91, v108 
             
	;;#ASMEND
	;;#ASMSTART
	
             v_fmac_f32 v40, v92, v105 
             
	;;#ASMEND
	;;#ASMSTART
	
             v_fmac_f32 v41, v92, v106 
             
	;;#ASMEND
	;;#ASMSTART
	
             v_fmac_f32 v42, v92, v107 
             
	;;#ASMEND
	;;#ASMSTART
	
             v_fmac_f32 v43, v92, v108 
             
	;;#ASMEND
	;;#ASMSTART
	
             v_fmac_f32 v32, v93, v105 
             
	;;#ASMEND
	;;#ASMSTART
	
             v_fmac_f32 v33, v93, v106 
             
	;;#ASMEND
	;;#ASMSTART
	
             v_fmac_f32 v34, v93, v107 
             
	;;#ASMEND
	;;#ASMSTART
	
             v_fmac_f32 v35, v93, v108 
             
	;;#ASMEND
	;;#ASMSTART
	
             v_fmac_f32 v44, v94, v105 
             
	;;#ASMEND
	;;#ASMSTART
	
             v_fmac_f32 v45, v94, v106 
             
	;;#ASMEND
	;;#ASMSTART
	
             v_fmac_f32 v46, v94, v107 
             
	;;#ASMEND
	;;#ASMSTART
	
             v_fmac_f32 v47, v94, v108 
             
	;;#ASMEND
	ds_read_b128 v[91:94], v98 offset:13312
	s_waitcnt lgkmcnt(1)
	;;#ASMSTART
	
             v_fmac_f32 v4, v109, v101 
             
	;;#ASMEND
	;;#ASMSTART
	
             v_fmac_f32 v5, v109, v102 
             
	;;#ASMEND
	;; [unrolled: 5-line block ×16, first 2 shown]
	ds_read_b128 v[101:104], v99 offset:29696
	;;#ASMSTART
	
             v_fmac_f32 v8, v109, v105 
             
	;;#ASMEND
	;;#ASMSTART
	
             v_fmac_f32 v9, v109, v106 
             
	;;#ASMEND
	;; [unrolled: 5-line block ×16, first 2 shown]
	ds_read_b128 v[105:108], v99 offset:29952
	ds_read_b128 v[109:112], v98 offset:13568
	s_waitcnt lgkmcnt(2)
	;;#ASMSTART
	
             v_fmac_f32 v0, v91, v101 
             
	;;#ASMEND
	;;#ASMSTART
	
             v_fmac_f32 v1, v91, v102 
             
	;;#ASMEND
	;; [unrolled: 5-line block ×16, first 2 shown]
	s_waitcnt lgkmcnt(1)
	;;#ASMSTART
	
             v_fmac_f32 v16, v91, v105 
             
	;;#ASMEND
	;;#ASMSTART
	
             v_fmac_f32 v17, v91, v106 
             
	;;#ASMEND
	;; [unrolled: 5-line block ×16, first 2 shown]
	ds_read_b128 v[91:94], v98 offset:13824
	s_waitcnt lgkmcnt(1)
	;;#ASMSTART
	
             v_fmac_f32 v4, v109, v101 
             
	;;#ASMEND
	;;#ASMSTART
	
             v_fmac_f32 v5, v109, v102 
             
	;;#ASMEND
	;; [unrolled: 5-line block ×16, first 2 shown]
	ds_read_b128 v[101:104], v99 offset:30208
	;;#ASMSTART
	
             v_fmac_f32 v8, v109, v105 
             
	;;#ASMEND
	;;#ASMSTART
	
             v_fmac_f32 v9, v109, v106 
             
	;;#ASMEND
	;; [unrolled: 5-line block ×16, first 2 shown]
	ds_read_b128 v[105:108], v99 offset:30464
	ds_read_b128 v[109:112], v98 offset:14080
	s_waitcnt lgkmcnt(2)
	;;#ASMSTART
	
             v_fmac_f32 v0, v91, v101 
             
	;;#ASMEND
	;;#ASMSTART
	
             v_fmac_f32 v1, v91, v102 
             
	;;#ASMEND
	;; [unrolled: 5-line block ×16, first 2 shown]
	s_waitcnt lgkmcnt(1)
	;;#ASMSTART
	
             v_fmac_f32 v16, v91, v105 
             
	;;#ASMEND
	;;#ASMSTART
	
             v_fmac_f32 v17, v91, v106 
             
	;;#ASMEND
	;; [unrolled: 5-line block ×16, first 2 shown]
	ds_read_b128 v[91:94], v98 offset:14336
	s_waitcnt lgkmcnt(1)
	;;#ASMSTART
	
             v_fmac_f32 v4, v109, v101 
             
	;;#ASMEND
	;;#ASMSTART
	
             v_fmac_f32 v5, v109, v102 
             
	;;#ASMEND
	;; [unrolled: 5-line block ×16, first 2 shown]
	ds_read_b128 v[101:104], v99 offset:30720
	;;#ASMSTART
	
             v_fmac_f32 v8, v109, v105 
             
	;;#ASMEND
	;;#ASMSTART
	
             v_fmac_f32 v9, v109, v106 
             
	;;#ASMEND
	;; [unrolled: 5-line block ×16, first 2 shown]
	ds_read_b128 v[105:108], v99 offset:30976
	ds_read_b128 v[109:112], v98 offset:14592
	s_waitcnt lgkmcnt(2)
	;;#ASMSTART
	
             v_fmac_f32 v0, v91, v101 
             
	;;#ASMEND
	;;#ASMSTART
	
             v_fmac_f32 v1, v91, v102 
             
	;;#ASMEND
	;; [unrolled: 5-line block ×16, first 2 shown]
	s_waitcnt lgkmcnt(1)
	;;#ASMSTART
	
             v_fmac_f32 v16, v91, v105 
             
	;;#ASMEND
	;;#ASMSTART
	
             v_fmac_f32 v17, v91, v106 
             
	;;#ASMEND
	;;#ASMSTART
	
             v_fmac_f32 v18, v91, v107 
             
	;;#ASMEND
	;;#ASMSTART
	
             v_fmac_f32 v19, v91, v108 
             
	;;#ASMEND
	;;#ASMSTART
	
             v_fmac_f32 v40, v92, v105 
             
	;;#ASMEND
	;;#ASMSTART
	
             v_fmac_f32 v41, v92, v106 
             
	;;#ASMEND
	;;#ASMSTART
	
             v_fmac_f32 v42, v92, v107 
             
	;;#ASMEND
	;;#ASMSTART
	
             v_fmac_f32 v43, v92, v108 
             
	;;#ASMEND
	;;#ASMSTART
	
             v_fmac_f32 v32, v93, v105 
             
	;;#ASMEND
	;;#ASMSTART
	
             v_fmac_f32 v33, v93, v106 
             
	;;#ASMEND
	;;#ASMSTART
	
             v_fmac_f32 v34, v93, v107 
             
	;;#ASMEND
	;;#ASMSTART
	
             v_fmac_f32 v35, v93, v108 
             
	;;#ASMEND
	;;#ASMSTART
	
             v_fmac_f32 v44, v94, v105 
             
	;;#ASMEND
	;;#ASMSTART
	
             v_fmac_f32 v45, v94, v106 
             
	;;#ASMEND
	;;#ASMSTART
	
             v_fmac_f32 v46, v94, v107 
             
	;;#ASMEND
	;;#ASMSTART
	
             v_fmac_f32 v47, v94, v108 
             
	;;#ASMEND
	ds_read_b128 v[91:94], v98 offset:14848
	s_waitcnt lgkmcnt(1)
	;;#ASMSTART
	
             v_fmac_f32 v4, v109, v101 
             
	;;#ASMEND
	;;#ASMSTART
	
             v_fmac_f32 v5, v109, v102 
             
	;;#ASMEND
	;; [unrolled: 5-line block ×16, first 2 shown]
	ds_read_b128 v[101:104], v99 offset:31232
	;;#ASMSTART
	
             v_fmac_f32 v8, v109, v105 
             
	;;#ASMEND
	;;#ASMSTART
	
             v_fmac_f32 v9, v109, v106 
             
	;;#ASMEND
	;; [unrolled: 5-line block ×16, first 2 shown]
	ds_read_b128 v[105:108], v99 offset:31488
	ds_read_b128 v[109:112], v98 offset:15104
	s_waitcnt lgkmcnt(2)
	;;#ASMSTART
	
             v_fmac_f32 v0, v91, v101 
             
	;;#ASMEND
	;;#ASMSTART
	
             v_fmac_f32 v1, v91, v102 
             
	;;#ASMEND
	;; [unrolled: 5-line block ×16, first 2 shown]
	s_waitcnt lgkmcnt(1)
	;;#ASMSTART
	
             v_fmac_f32 v16, v91, v105 
             
	;;#ASMEND
	;;#ASMSTART
	
             v_fmac_f32 v17, v91, v106 
             
	;;#ASMEND
	;; [unrolled: 5-line block ×16, first 2 shown]
	ds_read_b128 v[91:94], v98 offset:15360
	s_waitcnt lgkmcnt(1)
	;;#ASMSTART
	
             v_fmac_f32 v4, v109, v101 
             
	;;#ASMEND
	;;#ASMSTART
	
             v_fmac_f32 v5, v109, v102 
             
	;;#ASMEND
	;; [unrolled: 5-line block ×16, first 2 shown]
	ds_read_b128 v[101:104], v99 offset:31744
	;;#ASMSTART
	
             v_fmac_f32 v8, v109, v105 
             
	;;#ASMEND
	;;#ASMSTART
	
             v_fmac_f32 v9, v109, v106 
             
	;;#ASMEND
	;;#ASMSTART
	
             v_fmac_f32 v10, v109, v107 
             
	;;#ASMEND
	;;#ASMSTART
	
             v_fmac_f32 v11, v109, v108 
             
	;;#ASMEND
	;;#ASMSTART
	
             v_fmac_f32 v36, v110, v105 
             
	;;#ASMEND
	;;#ASMSTART
	
             v_fmac_f32 v37, v110, v106 
             
	;;#ASMEND
	;;#ASMSTART
	
             v_fmac_f32 v38, v110, v107 
             
	;;#ASMEND
	;;#ASMSTART
	
             v_fmac_f32 v39, v110, v108 
             
	;;#ASMEND
	;;#ASMSTART
	
             v_fmac_f32 v52, v111, v105 
             
	;;#ASMEND
	;;#ASMSTART
	
             v_fmac_f32 v53, v111, v106 
             
	;;#ASMEND
	;;#ASMSTART
	
             v_fmac_f32 v54, v111, v107 
             
	;;#ASMEND
	;;#ASMSTART
	
             v_fmac_f32 v55, v111, v108 
             
	;;#ASMEND
	;;#ASMSTART
	
             v_fmac_f32 v60, v112, v105 
             
	;;#ASMEND
	;;#ASMSTART
	
             v_fmac_f32 v61, v112, v106 
             
	;;#ASMEND
	;;#ASMSTART
	
             v_fmac_f32 v62, v112, v107 
             
	;;#ASMEND
	;;#ASMSTART
	
             v_fmac_f32 v63, v112, v108 
             
	;;#ASMEND
	ds_read_b128 v[105:108], v99 offset:32000
	ds_read_b128 v[109:112], v98 offset:15616
	s_waitcnt lgkmcnt(2)
	;;#ASMSTART
	
             v_fmac_f32 v0, v91, v101 
             
	;;#ASMEND
	;;#ASMSTART
	
             v_fmac_f32 v1, v91, v102 
             
	;;#ASMEND
	;; [unrolled: 5-line block ×16, first 2 shown]
	s_waitcnt lgkmcnt(1)
	;;#ASMSTART
	
             v_fmac_f32 v16, v91, v105 
             
	;;#ASMEND
	;;#ASMSTART
	
             v_fmac_f32 v17, v91, v106 
             
	;;#ASMEND
	;;#ASMSTART
	
             v_fmac_f32 v18, v91, v107 
             
	;;#ASMEND
	;;#ASMSTART
	
             v_fmac_f32 v19, v91, v108 
             
	;;#ASMEND
	;;#ASMSTART
	
             v_fmac_f32 v40, v92, v105 
             
	;;#ASMEND
	;;#ASMSTART
	
             v_fmac_f32 v41, v92, v106 
             
	;;#ASMEND
	;;#ASMSTART
	
             v_fmac_f32 v42, v92, v107 
             
	;;#ASMEND
	;;#ASMSTART
	
             v_fmac_f32 v43, v92, v108 
             
	;;#ASMEND
	;;#ASMSTART
	
             v_fmac_f32 v32, v93, v105 
             
	;;#ASMEND
	;;#ASMSTART
	
             v_fmac_f32 v33, v93, v106 
             
	;;#ASMEND
	;;#ASMSTART
	
             v_fmac_f32 v34, v93, v107 
             
	;;#ASMEND
	;;#ASMSTART
	
             v_fmac_f32 v35, v93, v108 
             
	;;#ASMEND
	;;#ASMSTART
	
             v_fmac_f32 v44, v94, v105 
             
	;;#ASMEND
	;;#ASMSTART
	
             v_fmac_f32 v45, v94, v106 
             
	;;#ASMEND
	;;#ASMSTART
	
             v_fmac_f32 v46, v94, v107 
             
	;;#ASMEND
	;;#ASMSTART
	
             v_fmac_f32 v47, v94, v108 
             
	;;#ASMEND
	ds_read_b128 v[91:94], v98 offset:15872
	s_waitcnt lgkmcnt(1)
	;;#ASMSTART
	
             v_fmac_f32 v4, v109, v101 
             
	;;#ASMEND
	;;#ASMSTART
	
             v_fmac_f32 v5, v109, v102 
             
	;;#ASMEND
	;; [unrolled: 5-line block ×16, first 2 shown]
	ds_read_b128 v[101:104], v99 offset:32256
	;;#ASMSTART
	
             v_fmac_f32 v8, v109, v105 
             
	;;#ASMEND
	;;#ASMSTART
	
             v_fmac_f32 v9, v109, v106 
             
	;;#ASMEND
	;; [unrolled: 5-line block ×16, first 2 shown]
	ds_read_b128 v[105:108], v99 offset:32512
	ds_read_b128 v[109:112], v98 offset:16128
	s_add_i32 s12, s12, 32
	v_add_u32_e32 v80, s14, v80
	v_add_u32_e32 v81, s23, v81
	;; [unrolled: 1-line block ×10, first 2 shown]
	s_cmp_lt_i32 s12, s21
	s_waitcnt lgkmcnt(2)
	;;#ASMSTART
	
             v_fmac_f32 v0, v91, v101 
             
	;;#ASMEND
	;;#ASMSTART
	
             v_fmac_f32 v1, v91, v102 
             
	;;#ASMEND
	;; [unrolled: 5-line block ×16, first 2 shown]
	s_waitcnt lgkmcnt(1)
	;;#ASMSTART
	
             v_fmac_f32 v16, v91, v105 
             
	;;#ASMEND
	;;#ASMSTART
	
             v_fmac_f32 v17, v91, v106 
             
	;;#ASMEND
	;; [unrolled: 5-line block ×16, first 2 shown]
	s_waitcnt lgkmcnt(0)
	;;#ASMSTART
	
             v_fmac_f32 v4, v109, v101 
             
	;;#ASMEND
	;;#ASMSTART
	
             v_fmac_f32 v5, v109, v102 
             
	;;#ASMEND
	;;#ASMSTART
	
             v_fmac_f32 v6, v109, v103 
             
	;;#ASMEND
	;;#ASMSTART
	
             v_fmac_f32 v7, v109, v104 
             
	;;#ASMEND
	;;#ASMSTART
	
             v_fmac_f32 v28, v110, v101 
             
	;;#ASMEND
	;;#ASMSTART
	
             v_fmac_f32 v29, v110, v102 
             
	;;#ASMEND
	;;#ASMSTART
	
             v_fmac_f32 v30, v110, v103 
             
	;;#ASMEND
	;;#ASMSTART
	
             v_fmac_f32 v31, v110, v104 
             
	;;#ASMEND
	;;#ASMSTART
	
             v_fmac_f32 v48, v111, v101 
             
	;;#ASMEND
	;;#ASMSTART
	
             v_fmac_f32 v49, v111, v102 
             
	;;#ASMEND
	;;#ASMSTART
	
             v_fmac_f32 v50, v111, v103 
             
	;;#ASMEND
	;;#ASMSTART
	
             v_fmac_f32 v51, v111, v104 
             
	;;#ASMEND
	;;#ASMSTART
	
             v_fmac_f32 v56, v112, v101 
             
	;;#ASMEND
	;;#ASMSTART
	
             v_fmac_f32 v57, v112, v102 
             
	;;#ASMEND
	;;#ASMSTART
	
             v_fmac_f32 v58, v112, v103 
             
	;;#ASMEND
	;;#ASMSTART
	
             v_fmac_f32 v59, v112, v104 
             
	;;#ASMEND
	;;#ASMSTART
	
             v_fmac_f32 v8, v109, v105 
             
	;;#ASMEND
	;;#ASMSTART
	
             v_fmac_f32 v9, v109, v106 
             
	;;#ASMEND
	;;#ASMSTART
	
             v_fmac_f32 v10, v109, v107 
             
	;;#ASMEND
	;;#ASMSTART
	
             v_fmac_f32 v11, v109, v108 
             
	;;#ASMEND
	;;#ASMSTART
	
             v_fmac_f32 v36, v110, v105 
             
	;;#ASMEND
	;;#ASMSTART
	
             v_fmac_f32 v37, v110, v106 
             
	;;#ASMEND
	;;#ASMSTART
	
             v_fmac_f32 v38, v110, v107 
             
	;;#ASMEND
	;;#ASMSTART
	
             v_fmac_f32 v39, v110, v108 
             
	;;#ASMEND
	;;#ASMSTART
	
             v_fmac_f32 v52, v111, v105 
             
	;;#ASMEND
	;;#ASMSTART
	
             v_fmac_f32 v53, v111, v106 
             
	;;#ASMEND
	;;#ASMSTART
	
             v_fmac_f32 v54, v111, v107 
             
	;;#ASMEND
	;;#ASMSTART
	
             v_fmac_f32 v55, v111, v108 
             
	;;#ASMEND
	;;#ASMSTART
	
             v_fmac_f32 v60, v112, v105 
             
	;;#ASMEND
	;;#ASMSTART
	
             v_fmac_f32 v61, v112, v106 
             
	;;#ASMEND
	;;#ASMSTART
	
             v_fmac_f32 v62, v112, v107 
             
	;;#ASMEND
	;;#ASMSTART
	
             v_fmac_f32 v63, v112, v108 
             
	;;#ASMEND
	ds_write_b128 v100, v[64:67]
	ds_write_b128 v100, v[68:71] offset:512
	ds_write_b128 v100, v[72:75] offset:16384
	;; [unrolled: 1-line block ×3, first 2 shown]
	s_cbranch_scc1 .LBB1_1
; %bb.2:
	v_add_u32_e32 v64, s20, v80
	v_add_u32_e32 v72, s15, v81
	v_lshlrev_b32_e32 v65, 2, v64
	v_add_lshl_u32 v68, v64, s19, 2
	v_lshlrev_b32_e32 v73, 2, v72
	v_add_lshl_u32 v76, v72, s18, 2
	s_waitcnt lgkmcnt(0)
	s_barrier
	buffer_load_dwordx4 v[64:67], v65, s[4:7], 0 offen
	s_nop 0
	buffer_load_dwordx4 v[68:71], v68, s[4:7], 0 offen
	ds_read_b128 v[84:87], v98
	ds_read_b128 v[88:91], v99 offset:16384
	buffer_load_dwordx4 v[72:75], v73, s[8:11], 0 offen
	s_nop 0
	buffer_load_dwordx4 v[76:79], v76, s[8:11], 0 offen
	ds_read_b128 v[80:83], v99 offset:16640
	ds_read_b128 v[92:95], v98 offset:256
	s_waitcnt lgkmcnt(2)
	;;#ASMSTART
	
             v_fmac_f32 v0, v84, v88 
             
	;;#ASMEND
	;;#ASMSTART
	
             v_fmac_f32 v1, v84, v89 
             
	;;#ASMEND
	;; [unrolled: 5-line block ×16, first 2 shown]
	s_waitcnt lgkmcnt(1)
	;;#ASMSTART
	
             v_fmac_f32 v16, v84, v80 
             
	;;#ASMEND
	;;#ASMSTART
	
             v_fmac_f32 v17, v84, v81 
             
	;;#ASMEND
	;; [unrolled: 5-line block ×16, first 2 shown]
	ds_read_b128 v[84:87], v98 offset:512
	s_waitcnt lgkmcnt(1)
	;;#ASMSTART
	
             v_fmac_f32 v4, v92, v88 
             
	;;#ASMEND
	;;#ASMSTART
	
             v_fmac_f32 v5, v92, v89 
             
	;;#ASMEND
	;; [unrolled: 5-line block ×16, first 2 shown]
	ds_read_b128 v[88:91], v99 offset:16896
	;;#ASMSTART
	
             v_fmac_f32 v8, v92, v80 
             
	;;#ASMEND
	;;#ASMSTART
	
             v_fmac_f32 v9, v92, v81 
             
	;;#ASMEND
	;; [unrolled: 5-line block ×16, first 2 shown]
	ds_read_b128 v[80:83], v99 offset:17152
	ds_read_b128 v[92:95], v98 offset:768
	s_waitcnt lgkmcnt(2)
	;;#ASMSTART
	
             v_fmac_f32 v0, v84, v88 
             
	;;#ASMEND
	;;#ASMSTART
	
             v_fmac_f32 v1, v84, v89 
             
	;;#ASMEND
	;; [unrolled: 5-line block ×16, first 2 shown]
	s_waitcnt lgkmcnt(1)
	;;#ASMSTART
	
             v_fmac_f32 v16, v84, v80 
             
	;;#ASMEND
	;;#ASMSTART
	
             v_fmac_f32 v17, v84, v81 
             
	;;#ASMEND
	;;#ASMSTART
	
             v_fmac_f32 v18, v84, v82 
             
	;;#ASMEND
	;;#ASMSTART
	
             v_fmac_f32 v19, v84, v83 
             
	;;#ASMEND
	;;#ASMSTART
	
             v_fmac_f32 v40, v85, v80 
             
	;;#ASMEND
	;;#ASMSTART
	
             v_fmac_f32 v41, v85, v81 
             
	;;#ASMEND
	;;#ASMSTART
	
             v_fmac_f32 v42, v85, v82 
             
	;;#ASMEND
	;;#ASMSTART
	
             v_fmac_f32 v43, v85, v83 
             
	;;#ASMEND
	;;#ASMSTART
	
             v_fmac_f32 v32, v86, v80 
             
	;;#ASMEND
	;;#ASMSTART
	
             v_fmac_f32 v33, v86, v81 
             
	;;#ASMEND
	;;#ASMSTART
	
             v_fmac_f32 v34, v86, v82 
             
	;;#ASMEND
	;;#ASMSTART
	
             v_fmac_f32 v35, v86, v83 
             
	;;#ASMEND
	;;#ASMSTART
	
             v_fmac_f32 v44, v87, v80 
             
	;;#ASMEND
	;;#ASMSTART
	
             v_fmac_f32 v45, v87, v81 
             
	;;#ASMEND
	;;#ASMSTART
	
             v_fmac_f32 v46, v87, v82 
             
	;;#ASMEND
	;;#ASMSTART
	
             v_fmac_f32 v47, v87, v83 
             
	;;#ASMEND
	ds_read_b128 v[84:87], v98 offset:1024
	s_waitcnt lgkmcnt(1)
	;;#ASMSTART
	
             v_fmac_f32 v4, v92, v88 
             
	;;#ASMEND
	;;#ASMSTART
	
             v_fmac_f32 v5, v92, v89 
             
	;;#ASMEND
	;; [unrolled: 5-line block ×16, first 2 shown]
	ds_read_b128 v[88:91], v99 offset:17408
	;;#ASMSTART
	
             v_fmac_f32 v8, v92, v80 
             
	;;#ASMEND
	;;#ASMSTART
	
             v_fmac_f32 v9, v92, v81 
             
	;;#ASMEND
	;; [unrolled: 5-line block ×16, first 2 shown]
	ds_read_b128 v[80:83], v99 offset:17664
	ds_read_b128 v[92:95], v98 offset:1280
	s_waitcnt lgkmcnt(2)
	;;#ASMSTART
	
             v_fmac_f32 v0, v84, v88 
             
	;;#ASMEND
	;;#ASMSTART
	
             v_fmac_f32 v1, v84, v89 
             
	;;#ASMEND
	;; [unrolled: 5-line block ×16, first 2 shown]
	s_waitcnt lgkmcnt(1)
	;;#ASMSTART
	
             v_fmac_f32 v16, v84, v80 
             
	;;#ASMEND
	;;#ASMSTART
	
             v_fmac_f32 v17, v84, v81 
             
	;;#ASMEND
	;; [unrolled: 5-line block ×16, first 2 shown]
	ds_read_b128 v[84:87], v98 offset:1536
	s_waitcnt lgkmcnt(1)
	;;#ASMSTART
	
             v_fmac_f32 v4, v92, v88 
             
	;;#ASMEND
	;;#ASMSTART
	
             v_fmac_f32 v5, v92, v89 
             
	;;#ASMEND
	;; [unrolled: 5-line block ×16, first 2 shown]
	ds_read_b128 v[88:91], v99 offset:17920
	;;#ASMSTART
	
             v_fmac_f32 v8, v92, v80 
             
	;;#ASMEND
	;;#ASMSTART
	
             v_fmac_f32 v9, v92, v81 
             
	;;#ASMEND
	;; [unrolled: 5-line block ×16, first 2 shown]
	ds_read_b128 v[80:83], v99 offset:18176
	ds_read_b128 v[92:95], v98 offset:1792
	s_waitcnt lgkmcnt(2)
	;;#ASMSTART
	
             v_fmac_f32 v0, v84, v88 
             
	;;#ASMEND
	;;#ASMSTART
	
             v_fmac_f32 v1, v84, v89 
             
	;;#ASMEND
	;; [unrolled: 5-line block ×16, first 2 shown]
	s_waitcnt lgkmcnt(1)
	;;#ASMSTART
	
             v_fmac_f32 v16, v84, v80 
             
	;;#ASMEND
	;;#ASMSTART
	
             v_fmac_f32 v17, v84, v81 
             
	;;#ASMEND
	;; [unrolled: 5-line block ×16, first 2 shown]
	ds_read_b128 v[84:87], v98 offset:2048
	s_waitcnt lgkmcnt(1)
	;;#ASMSTART
	
             v_fmac_f32 v4, v92, v88 
             
	;;#ASMEND
	;;#ASMSTART
	
             v_fmac_f32 v5, v92, v89 
             
	;;#ASMEND
	;; [unrolled: 5-line block ×16, first 2 shown]
	ds_read_b128 v[88:91], v99 offset:18432
	;;#ASMSTART
	
             v_fmac_f32 v8, v92, v80 
             
	;;#ASMEND
	;;#ASMSTART
	
             v_fmac_f32 v9, v92, v81 
             
	;;#ASMEND
	;; [unrolled: 5-line block ×16, first 2 shown]
	ds_read_b128 v[80:83], v99 offset:18688
	ds_read_b128 v[92:95], v98 offset:2304
	s_waitcnt lgkmcnt(2)
	;;#ASMSTART
	
             v_fmac_f32 v0, v84, v88 
             
	;;#ASMEND
	;;#ASMSTART
	
             v_fmac_f32 v1, v84, v89 
             
	;;#ASMEND
	;; [unrolled: 5-line block ×16, first 2 shown]
	s_waitcnt lgkmcnt(1)
	;;#ASMSTART
	
             v_fmac_f32 v16, v84, v80 
             
	;;#ASMEND
	;;#ASMSTART
	
             v_fmac_f32 v17, v84, v81 
             
	;;#ASMEND
	;; [unrolled: 5-line block ×16, first 2 shown]
	ds_read_b128 v[84:87], v98 offset:2560
	s_waitcnt lgkmcnt(1)
	;;#ASMSTART
	
             v_fmac_f32 v4, v92, v88 
             
	;;#ASMEND
	;;#ASMSTART
	
             v_fmac_f32 v5, v92, v89 
             
	;;#ASMEND
	;;#ASMSTART
	
             v_fmac_f32 v6, v92, v90 
             
	;;#ASMEND
	;;#ASMSTART
	
             v_fmac_f32 v7, v92, v91 
             
	;;#ASMEND
	;;#ASMSTART
	
             v_fmac_f32 v28, v93, v88 
             
	;;#ASMEND
	;;#ASMSTART
	
             v_fmac_f32 v29, v93, v89 
             
	;;#ASMEND
	;;#ASMSTART
	
             v_fmac_f32 v30, v93, v90 
             
	;;#ASMEND
	;;#ASMSTART
	
             v_fmac_f32 v31, v93, v91 
             
	;;#ASMEND
	;;#ASMSTART
	
             v_fmac_f32 v48, v94, v88 
             
	;;#ASMEND
	;;#ASMSTART
	
             v_fmac_f32 v49, v94, v89 
             
	;;#ASMEND
	;;#ASMSTART
	
             v_fmac_f32 v50, v94, v90 
             
	;;#ASMEND
	;;#ASMSTART
	
             v_fmac_f32 v51, v94, v91 
             
	;;#ASMEND
	;;#ASMSTART
	
             v_fmac_f32 v56, v95, v88 
             
	;;#ASMEND
	;;#ASMSTART
	
             v_fmac_f32 v57, v95, v89 
             
	;;#ASMEND
	;;#ASMSTART
	
             v_fmac_f32 v58, v95, v90 
             
	;;#ASMEND
	;;#ASMSTART
	
             v_fmac_f32 v59, v95, v91 
             
	;;#ASMEND
	ds_read_b128 v[88:91], v99 offset:18944
	;;#ASMSTART
	
             v_fmac_f32 v8, v92, v80 
             
	;;#ASMEND
	;;#ASMSTART
	
             v_fmac_f32 v9, v92, v81 
             
	;;#ASMEND
	;; [unrolled: 5-line block ×16, first 2 shown]
	ds_read_b128 v[80:83], v99 offset:19200
	ds_read_b128 v[92:95], v98 offset:2816
	s_waitcnt lgkmcnt(2)
	;;#ASMSTART
	
             v_fmac_f32 v0, v84, v88 
             
	;;#ASMEND
	;;#ASMSTART
	
             v_fmac_f32 v1, v84, v89 
             
	;;#ASMEND
	;; [unrolled: 5-line block ×16, first 2 shown]
	s_waitcnt lgkmcnt(1)
	;;#ASMSTART
	
             v_fmac_f32 v16, v84, v80 
             
	;;#ASMEND
	;;#ASMSTART
	
             v_fmac_f32 v17, v84, v81 
             
	;;#ASMEND
	;; [unrolled: 5-line block ×16, first 2 shown]
	ds_read_b128 v[84:87], v98 offset:3072
	s_waitcnt lgkmcnt(1)
	;;#ASMSTART
	
             v_fmac_f32 v4, v92, v88 
             
	;;#ASMEND
	;;#ASMSTART
	
             v_fmac_f32 v5, v92, v89 
             
	;;#ASMEND
	;; [unrolled: 5-line block ×16, first 2 shown]
	ds_read_b128 v[88:91], v99 offset:19456
	;;#ASMSTART
	
             v_fmac_f32 v8, v92, v80 
             
	;;#ASMEND
	;;#ASMSTART
	
             v_fmac_f32 v9, v92, v81 
             
	;;#ASMEND
	;; [unrolled: 5-line block ×16, first 2 shown]
	ds_read_b128 v[80:83], v99 offset:19712
	ds_read_b128 v[92:95], v98 offset:3328
	s_waitcnt lgkmcnt(2)
	;;#ASMSTART
	
             v_fmac_f32 v0, v84, v88 
             
	;;#ASMEND
	;;#ASMSTART
	
             v_fmac_f32 v1, v84, v89 
             
	;;#ASMEND
	;; [unrolled: 5-line block ×16, first 2 shown]
	s_waitcnt lgkmcnt(1)
	;;#ASMSTART
	
             v_fmac_f32 v16, v84, v80 
             
	;;#ASMEND
	;;#ASMSTART
	
             v_fmac_f32 v17, v84, v81 
             
	;;#ASMEND
	;; [unrolled: 5-line block ×16, first 2 shown]
	ds_read_b128 v[84:87], v98 offset:3584
	s_waitcnt lgkmcnt(1)
	;;#ASMSTART
	
             v_fmac_f32 v4, v92, v88 
             
	;;#ASMEND
	;;#ASMSTART
	
             v_fmac_f32 v5, v92, v89 
             
	;;#ASMEND
	;; [unrolled: 5-line block ×16, first 2 shown]
	ds_read_b128 v[88:91], v99 offset:19968
	;;#ASMSTART
	
             v_fmac_f32 v8, v92, v80 
             
	;;#ASMEND
	;;#ASMSTART
	
             v_fmac_f32 v9, v92, v81 
             
	;;#ASMEND
	;;#ASMSTART
	
             v_fmac_f32 v10, v92, v82 
             
	;;#ASMEND
	;;#ASMSTART
	
             v_fmac_f32 v11, v92, v83 
             
	;;#ASMEND
	;;#ASMSTART
	
             v_fmac_f32 v36, v93, v80 
             
	;;#ASMEND
	;;#ASMSTART
	
             v_fmac_f32 v37, v93, v81 
             
	;;#ASMEND
	;;#ASMSTART
	
             v_fmac_f32 v38, v93, v82 
             
	;;#ASMEND
	;;#ASMSTART
	
             v_fmac_f32 v39, v93, v83 
             
	;;#ASMEND
	;;#ASMSTART
	
             v_fmac_f32 v52, v94, v80 
             
	;;#ASMEND
	;;#ASMSTART
	
             v_fmac_f32 v53, v94, v81 
             
	;;#ASMEND
	;;#ASMSTART
	
             v_fmac_f32 v54, v94, v82 
             
	;;#ASMEND
	;;#ASMSTART
	
             v_fmac_f32 v55, v94, v83 
             
	;;#ASMEND
	;;#ASMSTART
	
             v_fmac_f32 v60, v95, v80 
             
	;;#ASMEND
	;;#ASMSTART
	
             v_fmac_f32 v61, v95, v81 
             
	;;#ASMEND
	;;#ASMSTART
	
             v_fmac_f32 v62, v95, v82 
             
	;;#ASMEND
	;;#ASMSTART
	
             v_fmac_f32 v63, v95, v83 
             
	;;#ASMEND
	ds_read_b128 v[80:83], v99 offset:20224
	ds_read_b128 v[92:95], v98 offset:3840
	s_waitcnt lgkmcnt(2)
	;;#ASMSTART
	
             v_fmac_f32 v0, v84, v88 
             
	;;#ASMEND
	;;#ASMSTART
	
             v_fmac_f32 v1, v84, v89 
             
	;;#ASMEND
	;; [unrolled: 5-line block ×16, first 2 shown]
	s_waitcnt lgkmcnt(1)
	;;#ASMSTART
	
             v_fmac_f32 v16, v84, v80 
             
	;;#ASMEND
	;;#ASMSTART
	
             v_fmac_f32 v17, v84, v81 
             
	;;#ASMEND
	;; [unrolled: 5-line block ×16, first 2 shown]
	ds_read_b128 v[84:87], v98 offset:4096
	s_waitcnt lgkmcnt(1)
	;;#ASMSTART
	
             v_fmac_f32 v4, v92, v88 
             
	;;#ASMEND
	;;#ASMSTART
	
             v_fmac_f32 v5, v92, v89 
             
	;;#ASMEND
	;; [unrolled: 5-line block ×16, first 2 shown]
	ds_read_b128 v[88:91], v99 offset:20480
	;;#ASMSTART
	
             v_fmac_f32 v8, v92, v80 
             
	;;#ASMEND
	;;#ASMSTART
	
             v_fmac_f32 v9, v92, v81 
             
	;;#ASMEND
	;; [unrolled: 5-line block ×16, first 2 shown]
	ds_read_b128 v[80:83], v99 offset:20736
	ds_read_b128 v[92:95], v98 offset:4352
	s_waitcnt lgkmcnt(2)
	;;#ASMSTART
	
             v_fmac_f32 v0, v84, v88 
             
	;;#ASMEND
	;;#ASMSTART
	
             v_fmac_f32 v1, v84, v89 
             
	;;#ASMEND
	;; [unrolled: 5-line block ×16, first 2 shown]
	s_waitcnt lgkmcnt(1)
	;;#ASMSTART
	
             v_fmac_f32 v16, v84, v80 
             
	;;#ASMEND
	;;#ASMSTART
	
             v_fmac_f32 v17, v84, v81 
             
	;;#ASMEND
	;; [unrolled: 5-line block ×16, first 2 shown]
	ds_read_b128 v[84:87], v98 offset:4608
	s_waitcnt lgkmcnt(1)
	;;#ASMSTART
	
             v_fmac_f32 v4, v92, v88 
             
	;;#ASMEND
	;;#ASMSTART
	
             v_fmac_f32 v5, v92, v89 
             
	;;#ASMEND
	;;#ASMSTART
	
             v_fmac_f32 v6, v92, v90 
             
	;;#ASMEND
	;;#ASMSTART
	
             v_fmac_f32 v7, v92, v91 
             
	;;#ASMEND
	;;#ASMSTART
	
             v_fmac_f32 v28, v93, v88 
             
	;;#ASMEND
	;;#ASMSTART
	
             v_fmac_f32 v29, v93, v89 
             
	;;#ASMEND
	;;#ASMSTART
	
             v_fmac_f32 v30, v93, v90 
             
	;;#ASMEND
	;;#ASMSTART
	
             v_fmac_f32 v31, v93, v91 
             
	;;#ASMEND
	;;#ASMSTART
	
             v_fmac_f32 v48, v94, v88 
             
	;;#ASMEND
	;;#ASMSTART
	
             v_fmac_f32 v49, v94, v89 
             
	;;#ASMEND
	;;#ASMSTART
	
             v_fmac_f32 v50, v94, v90 
             
	;;#ASMEND
	;;#ASMSTART
	
             v_fmac_f32 v51, v94, v91 
             
	;;#ASMEND
	;;#ASMSTART
	
             v_fmac_f32 v56, v95, v88 
             
	;;#ASMEND
	;;#ASMSTART
	
             v_fmac_f32 v57, v95, v89 
             
	;;#ASMEND
	;;#ASMSTART
	
             v_fmac_f32 v58, v95, v90 
             
	;;#ASMEND
	;;#ASMSTART
	
             v_fmac_f32 v59, v95, v91 
             
	;;#ASMEND
	ds_read_b128 v[88:91], v99 offset:20992
	;;#ASMSTART
	
             v_fmac_f32 v8, v92, v80 
             
	;;#ASMEND
	;;#ASMSTART
	
             v_fmac_f32 v9, v92, v81 
             
	;;#ASMEND
	;; [unrolled: 5-line block ×16, first 2 shown]
	ds_read_b128 v[80:83], v99 offset:21248
	ds_read_b128 v[92:95], v98 offset:4864
	s_waitcnt lgkmcnt(2)
	;;#ASMSTART
	
             v_fmac_f32 v0, v84, v88 
             
	;;#ASMEND
	;;#ASMSTART
	
             v_fmac_f32 v1, v84, v89 
             
	;;#ASMEND
	;; [unrolled: 5-line block ×16, first 2 shown]
	s_waitcnt lgkmcnt(1)
	;;#ASMSTART
	
             v_fmac_f32 v16, v84, v80 
             
	;;#ASMEND
	;;#ASMSTART
	
             v_fmac_f32 v17, v84, v81 
             
	;;#ASMEND
	;; [unrolled: 5-line block ×16, first 2 shown]
	ds_read_b128 v[84:87], v98 offset:5120
	s_waitcnt lgkmcnt(1)
	;;#ASMSTART
	
             v_fmac_f32 v4, v92, v88 
             
	;;#ASMEND
	;;#ASMSTART
	
             v_fmac_f32 v5, v92, v89 
             
	;;#ASMEND
	;; [unrolled: 5-line block ×16, first 2 shown]
	ds_read_b128 v[88:91], v99 offset:21504
	;;#ASMSTART
	
             v_fmac_f32 v8, v92, v80 
             
	;;#ASMEND
	;;#ASMSTART
	
             v_fmac_f32 v9, v92, v81 
             
	;;#ASMEND
	;; [unrolled: 5-line block ×16, first 2 shown]
	ds_read_b128 v[80:83], v99 offset:21760
	ds_read_b128 v[92:95], v98 offset:5376
	s_waitcnt lgkmcnt(2)
	;;#ASMSTART
	
             v_fmac_f32 v0, v84, v88 
             
	;;#ASMEND
	;;#ASMSTART
	
             v_fmac_f32 v1, v84, v89 
             
	;;#ASMEND
	;; [unrolled: 5-line block ×16, first 2 shown]
	s_waitcnt lgkmcnt(1)
	;;#ASMSTART
	
             v_fmac_f32 v16, v84, v80 
             
	;;#ASMEND
	;;#ASMSTART
	
             v_fmac_f32 v17, v84, v81 
             
	;;#ASMEND
	;; [unrolled: 5-line block ×16, first 2 shown]
	ds_read_b128 v[84:87], v98 offset:5632
	s_waitcnt lgkmcnt(1)
	;;#ASMSTART
	
             v_fmac_f32 v4, v92, v88 
             
	;;#ASMEND
	;;#ASMSTART
	
             v_fmac_f32 v5, v92, v89 
             
	;;#ASMEND
	;; [unrolled: 5-line block ×16, first 2 shown]
	ds_read_b128 v[88:91], v99 offset:22016
	;;#ASMSTART
	
             v_fmac_f32 v8, v92, v80 
             
	;;#ASMEND
	;;#ASMSTART
	
             v_fmac_f32 v9, v92, v81 
             
	;;#ASMEND
	;; [unrolled: 5-line block ×16, first 2 shown]
	ds_read_b128 v[80:83], v99 offset:22272
	ds_read_b128 v[92:95], v98 offset:5888
	s_waitcnt lgkmcnt(2)
	;;#ASMSTART
	
             v_fmac_f32 v0, v84, v88 
             
	;;#ASMEND
	;;#ASMSTART
	
             v_fmac_f32 v1, v84, v89 
             
	;;#ASMEND
	;; [unrolled: 5-line block ×16, first 2 shown]
	s_waitcnt lgkmcnt(1)
	;;#ASMSTART
	
             v_fmac_f32 v16, v84, v80 
             
	;;#ASMEND
	;;#ASMSTART
	
             v_fmac_f32 v17, v84, v81 
             
	;;#ASMEND
	;; [unrolled: 5-line block ×16, first 2 shown]
	ds_read_b128 v[84:87], v98 offset:6144
	s_waitcnt lgkmcnt(1)
	;;#ASMSTART
	
             v_fmac_f32 v4, v92, v88 
             
	;;#ASMEND
	;;#ASMSTART
	
             v_fmac_f32 v5, v92, v89 
             
	;;#ASMEND
	;; [unrolled: 5-line block ×16, first 2 shown]
	ds_read_b128 v[88:91], v99 offset:22528
	;;#ASMSTART
	
             v_fmac_f32 v8, v92, v80 
             
	;;#ASMEND
	;;#ASMSTART
	
             v_fmac_f32 v9, v92, v81 
             
	;;#ASMEND
	;; [unrolled: 5-line block ×16, first 2 shown]
	ds_read_b128 v[80:83], v99 offset:22784
	ds_read_b128 v[92:95], v98 offset:6400
	s_waitcnt lgkmcnt(2)
	;;#ASMSTART
	
             v_fmac_f32 v0, v84, v88 
             
	;;#ASMEND
	;;#ASMSTART
	
             v_fmac_f32 v1, v84, v89 
             
	;;#ASMEND
	;; [unrolled: 5-line block ×16, first 2 shown]
	s_waitcnt lgkmcnt(1)
	;;#ASMSTART
	
             v_fmac_f32 v16, v84, v80 
             
	;;#ASMEND
	;;#ASMSTART
	
             v_fmac_f32 v17, v84, v81 
             
	;;#ASMEND
	;; [unrolled: 5-line block ×16, first 2 shown]
	ds_read_b128 v[84:87], v98 offset:6656
	s_waitcnt lgkmcnt(1)
	;;#ASMSTART
	
             v_fmac_f32 v4, v92, v88 
             
	;;#ASMEND
	;;#ASMSTART
	
             v_fmac_f32 v5, v92, v89 
             
	;;#ASMEND
	;; [unrolled: 5-line block ×16, first 2 shown]
	ds_read_b128 v[88:91], v99 offset:23040
	;;#ASMSTART
	
             v_fmac_f32 v8, v92, v80 
             
	;;#ASMEND
	;;#ASMSTART
	
             v_fmac_f32 v9, v92, v81 
             
	;;#ASMEND
	;; [unrolled: 5-line block ×16, first 2 shown]
	ds_read_b128 v[80:83], v99 offset:23296
	ds_read_b128 v[92:95], v98 offset:6912
	s_waitcnt lgkmcnt(2)
	;;#ASMSTART
	
             v_fmac_f32 v0, v84, v88 
             
	;;#ASMEND
	;;#ASMSTART
	
             v_fmac_f32 v1, v84, v89 
             
	;;#ASMEND
	;; [unrolled: 5-line block ×16, first 2 shown]
	s_waitcnt lgkmcnt(1)
	;;#ASMSTART
	
             v_fmac_f32 v16, v84, v80 
             
	;;#ASMEND
	;;#ASMSTART
	
             v_fmac_f32 v17, v84, v81 
             
	;;#ASMEND
	;; [unrolled: 5-line block ×16, first 2 shown]
	ds_read_b128 v[84:87], v98 offset:7168
	s_waitcnt lgkmcnt(1)
	;;#ASMSTART
	
             v_fmac_f32 v4, v92, v88 
             
	;;#ASMEND
	;;#ASMSTART
	
             v_fmac_f32 v5, v92, v89 
             
	;;#ASMEND
	;; [unrolled: 5-line block ×16, first 2 shown]
	ds_read_b128 v[88:91], v99 offset:23552
	;;#ASMSTART
	
             v_fmac_f32 v8, v92, v80 
             
	;;#ASMEND
	;;#ASMSTART
	
             v_fmac_f32 v9, v92, v81 
             
	;;#ASMEND
	;; [unrolled: 5-line block ×16, first 2 shown]
	ds_read_b128 v[80:83], v99 offset:23808
	ds_read_b128 v[92:95], v98 offset:7424
	s_waitcnt lgkmcnt(2)
	;;#ASMSTART
	
             v_fmac_f32 v0, v84, v88 
             
	;;#ASMEND
	;;#ASMSTART
	
             v_fmac_f32 v1, v84, v89 
             
	;;#ASMEND
	;;#ASMSTART
	
             v_fmac_f32 v2, v84, v90 
             
	;;#ASMEND
	;;#ASMSTART
	
             v_fmac_f32 v3, v84, v91 
             
	;;#ASMEND
	;;#ASMSTART
	
             v_fmac_f32 v12, v85, v88 
             
	;;#ASMEND
	;;#ASMSTART
	
             v_fmac_f32 v13, v85, v89 
             
	;;#ASMEND
	;;#ASMSTART
	
             v_fmac_f32 v14, v85, v90 
             
	;;#ASMEND
	;;#ASMSTART
	
             v_fmac_f32 v15, v85, v91 
             
	;;#ASMEND
	;;#ASMSTART
	
             v_fmac_f32 v24, v86, v88 
             
	;;#ASMEND
	;;#ASMSTART
	
             v_fmac_f32 v25, v86, v89 
             
	;;#ASMEND
	;;#ASMSTART
	
             v_fmac_f32 v26, v86, v90 
             
	;;#ASMEND
	;;#ASMSTART
	
             v_fmac_f32 v27, v86, v91 
             
	;;#ASMEND
	;;#ASMSTART
	
             v_fmac_f32 v20, v87, v88 
             
	;;#ASMEND
	;;#ASMSTART
	
             v_fmac_f32 v21, v87, v89 
             
	;;#ASMEND
	;;#ASMSTART
	
             v_fmac_f32 v22, v87, v90 
             
	;;#ASMEND
	;;#ASMSTART
	
             v_fmac_f32 v23, v87, v91 
             
	;;#ASMEND
	s_waitcnt lgkmcnt(1)
	;;#ASMSTART
	
             v_fmac_f32 v16, v84, v80 
             
	;;#ASMEND
	;;#ASMSTART
	
             v_fmac_f32 v17, v84, v81 
             
	;;#ASMEND
	;; [unrolled: 5-line block ×16, first 2 shown]
	ds_read_b128 v[84:87], v98 offset:7680
	s_waitcnt lgkmcnt(1)
	;;#ASMSTART
	
             v_fmac_f32 v4, v92, v88 
             
	;;#ASMEND
	;;#ASMSTART
	
             v_fmac_f32 v5, v92, v89 
             
	;;#ASMEND
	;; [unrolled: 5-line block ×16, first 2 shown]
	ds_read_b128 v[88:91], v99 offset:24064
	;;#ASMSTART
	
             v_fmac_f32 v8, v92, v80 
             
	;;#ASMEND
	;;#ASMSTART
	
             v_fmac_f32 v9, v92, v81 
             
	;;#ASMEND
	;; [unrolled: 5-line block ×16, first 2 shown]
	ds_read_b128 v[80:83], v99 offset:24320
	ds_read_b128 v[92:95], v98 offset:7936
	s_waitcnt lgkmcnt(2)
	;;#ASMSTART
	
             v_fmac_f32 v0, v84, v88 
             
	;;#ASMEND
	;;#ASMSTART
	
             v_fmac_f32 v1, v84, v89 
             
	;;#ASMEND
	;; [unrolled: 5-line block ×16, first 2 shown]
	s_waitcnt lgkmcnt(1)
	;;#ASMSTART
	
             v_fmac_f32 v16, v84, v80 
             
	;;#ASMEND
	;;#ASMSTART
	
             v_fmac_f32 v17, v84, v81 
             
	;;#ASMEND
	;; [unrolled: 5-line block ×16, first 2 shown]
	s_waitcnt lgkmcnt(0)
	;;#ASMSTART
	
             v_fmac_f32 v4, v92, v88 
             
	;;#ASMEND
	;;#ASMSTART
	
             v_fmac_f32 v5, v92, v89 
             
	;;#ASMEND
	;; [unrolled: 5-line block ×32, first 2 shown]
	s_waitcnt vmcnt(3)
	ds_write_b128 v100, v[64:67] offset:8192
	s_waitcnt vmcnt(2)
	ds_write_b128 v100, v[68:71] offset:8704
	;; [unrolled: 2-line block ×4, first 2 shown]
	s_waitcnt lgkmcnt(0)
	s_barrier
	ds_read_b128 v[68:71], v98 offset:8192
	ds_read_b128 v[72:75], v99 offset:24576
	;; [unrolled: 1-line block ×4, first 2 shown]
	s_waitcnt lgkmcnt(2)
	;;#ASMSTART
	
             v_fmac_f32 v0, v68, v72 
             
	;;#ASMEND
	;;#ASMSTART
	
             v_fmac_f32 v1, v68, v73 
             
	;;#ASMEND
	;; [unrolled: 5-line block ×16, first 2 shown]
	s_waitcnt lgkmcnt(1)
	;;#ASMSTART
	
             v_fmac_f32 v16, v68, v64 
             
	;;#ASMEND
	;;#ASMSTART
	
             v_fmac_f32 v17, v68, v65 
             
	;;#ASMEND
	;;#ASMSTART
	
             v_fmac_f32 v18, v68, v66 
             
	;;#ASMEND
	;;#ASMSTART
	
             v_fmac_f32 v19, v68, v67 
             
	;;#ASMEND
	;;#ASMSTART
	
             v_fmac_f32 v40, v69, v64 
             
	;;#ASMEND
	;;#ASMSTART
	
             v_fmac_f32 v41, v69, v65 
             
	;;#ASMEND
	;;#ASMSTART
	
             v_fmac_f32 v42, v69, v66 
             
	;;#ASMEND
	;;#ASMSTART
	
             v_fmac_f32 v43, v69, v67 
             
	;;#ASMEND
	;;#ASMSTART
	
             v_fmac_f32 v32, v70, v64 
             
	;;#ASMEND
	;;#ASMSTART
	
             v_fmac_f32 v33, v70, v65 
             
	;;#ASMEND
	;;#ASMSTART
	
             v_fmac_f32 v34, v70, v66 
             
	;;#ASMEND
	;;#ASMSTART
	
             v_fmac_f32 v35, v70, v67 
             
	;;#ASMEND
	;;#ASMSTART
	
             v_fmac_f32 v44, v71, v64 
             
	;;#ASMEND
	;;#ASMSTART
	
             v_fmac_f32 v45, v71, v65 
             
	;;#ASMEND
	;;#ASMSTART
	
             v_fmac_f32 v46, v71, v66 
             
	;;#ASMEND
	;;#ASMSTART
	
             v_fmac_f32 v47, v71, v67 
             
	;;#ASMEND
	ds_read_b128 v[68:71], v98 offset:8704
	s_waitcnt lgkmcnt(1)
	;;#ASMSTART
	
             v_fmac_f32 v4, v76, v72 
             
	;;#ASMEND
	;;#ASMSTART
	
             v_fmac_f32 v5, v76, v73 
             
	;;#ASMEND
	;; [unrolled: 5-line block ×16, first 2 shown]
	ds_read_b128 v[72:75], v99 offset:25088
	;;#ASMSTART
	
             v_fmac_f32 v8, v76, v64 
             
	;;#ASMEND
	;;#ASMSTART
	
             v_fmac_f32 v9, v76, v65 
             
	;;#ASMEND
	;; [unrolled: 5-line block ×16, first 2 shown]
	ds_read_b128 v[64:67], v99 offset:25344
	ds_read_b128 v[76:79], v98 offset:8960
	s_waitcnt lgkmcnt(2)
	;;#ASMSTART
	
             v_fmac_f32 v0, v68, v72 
             
	;;#ASMEND
	;;#ASMSTART
	
             v_fmac_f32 v1, v68, v73 
             
	;;#ASMEND
	;; [unrolled: 5-line block ×16, first 2 shown]
	s_waitcnt lgkmcnt(1)
	;;#ASMSTART
	
             v_fmac_f32 v16, v68, v64 
             
	;;#ASMEND
	;;#ASMSTART
	
             v_fmac_f32 v17, v68, v65 
             
	;;#ASMEND
	;; [unrolled: 5-line block ×16, first 2 shown]
	ds_read_b128 v[68:71], v98 offset:9216
	s_waitcnt lgkmcnt(1)
	;;#ASMSTART
	
             v_fmac_f32 v4, v76, v72 
             
	;;#ASMEND
	;;#ASMSTART
	
             v_fmac_f32 v5, v76, v73 
             
	;;#ASMEND
	;; [unrolled: 5-line block ×16, first 2 shown]
	ds_read_b128 v[72:75], v99 offset:25600
	;;#ASMSTART
	
             v_fmac_f32 v8, v76, v64 
             
	;;#ASMEND
	;;#ASMSTART
	
             v_fmac_f32 v9, v76, v65 
             
	;;#ASMEND
	;; [unrolled: 5-line block ×16, first 2 shown]
	ds_read_b128 v[64:67], v99 offset:25856
	ds_read_b128 v[76:79], v98 offset:9472
	s_waitcnt lgkmcnt(2)
	;;#ASMSTART
	
             v_fmac_f32 v0, v68, v72 
             
	;;#ASMEND
	;;#ASMSTART
	
             v_fmac_f32 v1, v68, v73 
             
	;;#ASMEND
	;; [unrolled: 5-line block ×16, first 2 shown]
	s_waitcnt lgkmcnt(1)
	;;#ASMSTART
	
             v_fmac_f32 v16, v68, v64 
             
	;;#ASMEND
	;;#ASMSTART
	
             v_fmac_f32 v17, v68, v65 
             
	;;#ASMEND
	;; [unrolled: 5-line block ×16, first 2 shown]
	ds_read_b128 v[68:71], v98 offset:9728
	s_waitcnt lgkmcnt(1)
	;;#ASMSTART
	
             v_fmac_f32 v4, v76, v72 
             
	;;#ASMEND
	;;#ASMSTART
	
             v_fmac_f32 v5, v76, v73 
             
	;;#ASMEND
	;; [unrolled: 5-line block ×16, first 2 shown]
	ds_read_b128 v[72:75], v99 offset:26112
	;;#ASMSTART
	
             v_fmac_f32 v8, v76, v64 
             
	;;#ASMEND
	;;#ASMSTART
	
             v_fmac_f32 v9, v76, v65 
             
	;;#ASMEND
	;; [unrolled: 5-line block ×16, first 2 shown]
	ds_read_b128 v[64:67], v99 offset:26368
	ds_read_b128 v[76:79], v98 offset:9984
	s_waitcnt lgkmcnt(2)
	;;#ASMSTART
	
             v_fmac_f32 v0, v68, v72 
             
	;;#ASMEND
	;;#ASMSTART
	
             v_fmac_f32 v1, v68, v73 
             
	;;#ASMEND
	;; [unrolled: 5-line block ×16, first 2 shown]
	s_waitcnt lgkmcnt(1)
	;;#ASMSTART
	
             v_fmac_f32 v16, v68, v64 
             
	;;#ASMEND
	;;#ASMSTART
	
             v_fmac_f32 v17, v68, v65 
             
	;;#ASMEND
	;; [unrolled: 5-line block ×16, first 2 shown]
	ds_read_b128 v[68:71], v98 offset:10240
	s_waitcnt lgkmcnt(1)
	;;#ASMSTART
	
             v_fmac_f32 v4, v76, v72 
             
	;;#ASMEND
	;;#ASMSTART
	
             v_fmac_f32 v5, v76, v73 
             
	;;#ASMEND
	;; [unrolled: 5-line block ×16, first 2 shown]
	ds_read_b128 v[72:75], v99 offset:26624
	;;#ASMSTART
	
             v_fmac_f32 v8, v76, v64 
             
	;;#ASMEND
	;;#ASMSTART
	
             v_fmac_f32 v9, v76, v65 
             
	;;#ASMEND
	;; [unrolled: 5-line block ×16, first 2 shown]
	ds_read_b128 v[64:67], v99 offset:26880
	ds_read_b128 v[76:79], v98 offset:10496
	s_waitcnt lgkmcnt(2)
	;;#ASMSTART
	
             v_fmac_f32 v0, v68, v72 
             
	;;#ASMEND
	;;#ASMSTART
	
             v_fmac_f32 v1, v68, v73 
             
	;;#ASMEND
	;; [unrolled: 5-line block ×16, first 2 shown]
	s_waitcnt lgkmcnt(1)
	;;#ASMSTART
	
             v_fmac_f32 v16, v68, v64 
             
	;;#ASMEND
	;;#ASMSTART
	
             v_fmac_f32 v17, v68, v65 
             
	;;#ASMEND
	;; [unrolled: 5-line block ×16, first 2 shown]
	ds_read_b128 v[68:71], v98 offset:10752
	s_waitcnt lgkmcnt(1)
	;;#ASMSTART
	
             v_fmac_f32 v4, v76, v72 
             
	;;#ASMEND
	;;#ASMSTART
	
             v_fmac_f32 v5, v76, v73 
             
	;;#ASMEND
	;; [unrolled: 5-line block ×16, first 2 shown]
	ds_read_b128 v[72:75], v99 offset:27136
	;;#ASMSTART
	
             v_fmac_f32 v8, v76, v64 
             
	;;#ASMEND
	;;#ASMSTART
	
             v_fmac_f32 v9, v76, v65 
             
	;;#ASMEND
	;;#ASMSTART
	
             v_fmac_f32 v10, v76, v66 
             
	;;#ASMEND
	;;#ASMSTART
	
             v_fmac_f32 v11, v76, v67 
             
	;;#ASMEND
	;;#ASMSTART
	
             v_fmac_f32 v36, v77, v64 
             
	;;#ASMEND
	;;#ASMSTART
	
             v_fmac_f32 v37, v77, v65 
             
	;;#ASMEND
	;;#ASMSTART
	
             v_fmac_f32 v38, v77, v66 
             
	;;#ASMEND
	;;#ASMSTART
	
             v_fmac_f32 v39, v77, v67 
             
	;;#ASMEND
	;;#ASMSTART
	
             v_fmac_f32 v52, v78, v64 
             
	;;#ASMEND
	;;#ASMSTART
	
             v_fmac_f32 v53, v78, v65 
             
	;;#ASMEND
	;;#ASMSTART
	
             v_fmac_f32 v54, v78, v66 
             
	;;#ASMEND
	;;#ASMSTART
	
             v_fmac_f32 v55, v78, v67 
             
	;;#ASMEND
	;;#ASMSTART
	
             v_fmac_f32 v60, v79, v64 
             
	;;#ASMEND
	;;#ASMSTART
	
             v_fmac_f32 v61, v79, v65 
             
	;;#ASMEND
	;;#ASMSTART
	
             v_fmac_f32 v62, v79, v66 
             
	;;#ASMEND
	;;#ASMSTART
	
             v_fmac_f32 v63, v79, v67 
             
	;;#ASMEND
	ds_read_b128 v[64:67], v99 offset:27392
	ds_read_b128 v[76:79], v98 offset:11008
	s_waitcnt lgkmcnt(2)
	;;#ASMSTART
	
             v_fmac_f32 v0, v68, v72 
             
	;;#ASMEND
	;;#ASMSTART
	
             v_fmac_f32 v1, v68, v73 
             
	;;#ASMEND
	;; [unrolled: 5-line block ×16, first 2 shown]
	s_waitcnt lgkmcnt(1)
	;;#ASMSTART
	
             v_fmac_f32 v16, v68, v64 
             
	;;#ASMEND
	;;#ASMSTART
	
             v_fmac_f32 v17, v68, v65 
             
	;;#ASMEND
	;; [unrolled: 5-line block ×16, first 2 shown]
	ds_read_b128 v[68:71], v98 offset:11264
	s_waitcnt lgkmcnt(1)
	;;#ASMSTART
	
             v_fmac_f32 v4, v76, v72 
             
	;;#ASMEND
	;;#ASMSTART
	
             v_fmac_f32 v5, v76, v73 
             
	;;#ASMEND
	;;#ASMSTART
	
             v_fmac_f32 v6, v76, v74 
             
	;;#ASMEND
	;;#ASMSTART
	
             v_fmac_f32 v7, v76, v75 
             
	;;#ASMEND
	;;#ASMSTART
	
             v_fmac_f32 v28, v77, v72 
             
	;;#ASMEND
	;;#ASMSTART
	
             v_fmac_f32 v29, v77, v73 
             
	;;#ASMEND
	;;#ASMSTART
	
             v_fmac_f32 v30, v77, v74 
             
	;;#ASMEND
	;;#ASMSTART
	
             v_fmac_f32 v31, v77, v75 
             
	;;#ASMEND
	;;#ASMSTART
	
             v_fmac_f32 v48, v78, v72 
             
	;;#ASMEND
	;;#ASMSTART
	
             v_fmac_f32 v49, v78, v73 
             
	;;#ASMEND
	;;#ASMSTART
	
             v_fmac_f32 v50, v78, v74 
             
	;;#ASMEND
	;;#ASMSTART
	
             v_fmac_f32 v51, v78, v75 
             
	;;#ASMEND
	;;#ASMSTART
	
             v_fmac_f32 v56, v79, v72 
             
	;;#ASMEND
	;;#ASMSTART
	
             v_fmac_f32 v57, v79, v73 
             
	;;#ASMEND
	;;#ASMSTART
	
             v_fmac_f32 v58, v79, v74 
             
	;;#ASMEND
	;;#ASMSTART
	
             v_fmac_f32 v59, v79, v75 
             
	;;#ASMEND
	ds_read_b128 v[72:75], v99 offset:27648
	;;#ASMSTART
	
             v_fmac_f32 v8, v76, v64 
             
	;;#ASMEND
	;;#ASMSTART
	
             v_fmac_f32 v9, v76, v65 
             
	;;#ASMEND
	;; [unrolled: 5-line block ×16, first 2 shown]
	ds_read_b128 v[64:67], v99 offset:27904
	ds_read_b128 v[76:79], v98 offset:11520
	s_waitcnt lgkmcnt(2)
	;;#ASMSTART
	
             v_fmac_f32 v0, v68, v72 
             
	;;#ASMEND
	;;#ASMSTART
	
             v_fmac_f32 v1, v68, v73 
             
	;;#ASMEND
	;; [unrolled: 5-line block ×16, first 2 shown]
	s_waitcnt lgkmcnt(1)
	;;#ASMSTART
	
             v_fmac_f32 v16, v68, v64 
             
	;;#ASMEND
	;;#ASMSTART
	
             v_fmac_f32 v17, v68, v65 
             
	;;#ASMEND
	;; [unrolled: 5-line block ×16, first 2 shown]
	ds_read_b128 v[68:71], v98 offset:11776
	s_waitcnt lgkmcnt(1)
	;;#ASMSTART
	
             v_fmac_f32 v4, v76, v72 
             
	;;#ASMEND
	;;#ASMSTART
	
             v_fmac_f32 v5, v76, v73 
             
	;;#ASMEND
	;; [unrolled: 5-line block ×16, first 2 shown]
	ds_read_b128 v[72:75], v99 offset:28160
	;;#ASMSTART
	
             v_fmac_f32 v8, v76, v64 
             
	;;#ASMEND
	;;#ASMSTART
	
             v_fmac_f32 v9, v76, v65 
             
	;;#ASMEND
	;; [unrolled: 5-line block ×16, first 2 shown]
	ds_read_b128 v[64:67], v99 offset:28416
	ds_read_b128 v[76:79], v98 offset:12032
	s_waitcnt lgkmcnt(2)
	;;#ASMSTART
	
             v_fmac_f32 v0, v68, v72 
             
	;;#ASMEND
	;;#ASMSTART
	
             v_fmac_f32 v1, v68, v73 
             
	;;#ASMEND
	;; [unrolled: 5-line block ×16, first 2 shown]
	s_waitcnt lgkmcnt(1)
	;;#ASMSTART
	
             v_fmac_f32 v16, v68, v64 
             
	;;#ASMEND
	;;#ASMSTART
	
             v_fmac_f32 v17, v68, v65 
             
	;;#ASMEND
	;; [unrolled: 5-line block ×16, first 2 shown]
	ds_read_b128 v[68:71], v98 offset:12288
	s_waitcnt lgkmcnt(1)
	;;#ASMSTART
	
             v_fmac_f32 v4, v76, v72 
             
	;;#ASMEND
	;;#ASMSTART
	
             v_fmac_f32 v5, v76, v73 
             
	;;#ASMEND
	;;#ASMSTART
	
             v_fmac_f32 v6, v76, v74 
             
	;;#ASMEND
	;;#ASMSTART
	
             v_fmac_f32 v7, v76, v75 
             
	;;#ASMEND
	;;#ASMSTART
	
             v_fmac_f32 v28, v77, v72 
             
	;;#ASMEND
	;;#ASMSTART
	
             v_fmac_f32 v29, v77, v73 
             
	;;#ASMEND
	;;#ASMSTART
	
             v_fmac_f32 v30, v77, v74 
             
	;;#ASMEND
	;;#ASMSTART
	
             v_fmac_f32 v31, v77, v75 
             
	;;#ASMEND
	;;#ASMSTART
	
             v_fmac_f32 v48, v78, v72 
             
	;;#ASMEND
	;;#ASMSTART
	
             v_fmac_f32 v49, v78, v73 
             
	;;#ASMEND
	;;#ASMSTART
	
             v_fmac_f32 v50, v78, v74 
             
	;;#ASMEND
	;;#ASMSTART
	
             v_fmac_f32 v51, v78, v75 
             
	;;#ASMEND
	;;#ASMSTART
	
             v_fmac_f32 v56, v79, v72 
             
	;;#ASMEND
	;;#ASMSTART
	
             v_fmac_f32 v57, v79, v73 
             
	;;#ASMEND
	;;#ASMSTART
	
             v_fmac_f32 v58, v79, v74 
             
	;;#ASMEND
	;;#ASMSTART
	
             v_fmac_f32 v59, v79, v75 
             
	;;#ASMEND
	ds_read_b128 v[72:75], v99 offset:28672
	;;#ASMSTART
	
             v_fmac_f32 v8, v76, v64 
             
	;;#ASMEND
	;;#ASMSTART
	
             v_fmac_f32 v9, v76, v65 
             
	;;#ASMEND
	;; [unrolled: 5-line block ×16, first 2 shown]
	ds_read_b128 v[64:67], v99 offset:28928
	ds_read_b128 v[76:79], v98 offset:12544
	s_waitcnt lgkmcnt(2)
	;;#ASMSTART
	
             v_fmac_f32 v0, v68, v72 
             
	;;#ASMEND
	;;#ASMSTART
	
             v_fmac_f32 v1, v68, v73 
             
	;;#ASMEND
	;; [unrolled: 5-line block ×16, first 2 shown]
	s_waitcnt lgkmcnt(1)
	;;#ASMSTART
	
             v_fmac_f32 v16, v68, v64 
             
	;;#ASMEND
	;;#ASMSTART
	
             v_fmac_f32 v17, v68, v65 
             
	;;#ASMEND
	;; [unrolled: 5-line block ×16, first 2 shown]
	ds_read_b128 v[68:71], v98 offset:12800
	s_waitcnt lgkmcnt(1)
	;;#ASMSTART
	
             v_fmac_f32 v4, v76, v72 
             
	;;#ASMEND
	;;#ASMSTART
	
             v_fmac_f32 v5, v76, v73 
             
	;;#ASMEND
	;; [unrolled: 5-line block ×16, first 2 shown]
	ds_read_b128 v[72:75], v99 offset:29184
	;;#ASMSTART
	
             v_fmac_f32 v8, v76, v64 
             
	;;#ASMEND
	;;#ASMSTART
	
             v_fmac_f32 v9, v76, v65 
             
	;;#ASMEND
	;; [unrolled: 5-line block ×16, first 2 shown]
	ds_read_b128 v[64:67], v99 offset:29440
	ds_read_b128 v[76:79], v98 offset:13056
	s_waitcnt lgkmcnt(2)
	;;#ASMSTART
	
             v_fmac_f32 v0, v68, v72 
             
	;;#ASMEND
	;;#ASMSTART
	
             v_fmac_f32 v1, v68, v73 
             
	;;#ASMEND
	;; [unrolled: 5-line block ×16, first 2 shown]
	s_waitcnt lgkmcnt(1)
	;;#ASMSTART
	
             v_fmac_f32 v16, v68, v64 
             
	;;#ASMEND
	;;#ASMSTART
	
             v_fmac_f32 v17, v68, v65 
             
	;;#ASMEND
	;;#ASMSTART
	
             v_fmac_f32 v18, v68, v66 
             
	;;#ASMEND
	;;#ASMSTART
	
             v_fmac_f32 v19, v68, v67 
             
	;;#ASMEND
	;;#ASMSTART
	
             v_fmac_f32 v40, v69, v64 
             
	;;#ASMEND
	;;#ASMSTART
	
             v_fmac_f32 v41, v69, v65 
             
	;;#ASMEND
	;;#ASMSTART
	
             v_fmac_f32 v42, v69, v66 
             
	;;#ASMEND
	;;#ASMSTART
	
             v_fmac_f32 v43, v69, v67 
             
	;;#ASMEND
	;;#ASMSTART
	
             v_fmac_f32 v32, v70, v64 
             
	;;#ASMEND
	;;#ASMSTART
	
             v_fmac_f32 v33, v70, v65 
             
	;;#ASMEND
	;;#ASMSTART
	
             v_fmac_f32 v34, v70, v66 
             
	;;#ASMEND
	;;#ASMSTART
	
             v_fmac_f32 v35, v70, v67 
             
	;;#ASMEND
	;;#ASMSTART
	
             v_fmac_f32 v44, v71, v64 
             
	;;#ASMEND
	;;#ASMSTART
	
             v_fmac_f32 v45, v71, v65 
             
	;;#ASMEND
	;;#ASMSTART
	
             v_fmac_f32 v46, v71, v66 
             
	;;#ASMEND
	;;#ASMSTART
	
             v_fmac_f32 v47, v71, v67 
             
	;;#ASMEND
	ds_read_b128 v[68:71], v98 offset:13312
	s_waitcnt lgkmcnt(1)
	;;#ASMSTART
	
             v_fmac_f32 v4, v76, v72 
             
	;;#ASMEND
	;;#ASMSTART
	
             v_fmac_f32 v5, v76, v73 
             
	;;#ASMEND
	;; [unrolled: 5-line block ×16, first 2 shown]
	ds_read_b128 v[72:75], v99 offset:29696
	;;#ASMSTART
	
             v_fmac_f32 v8, v76, v64 
             
	;;#ASMEND
	;;#ASMSTART
	
             v_fmac_f32 v9, v76, v65 
             
	;;#ASMEND
	;; [unrolled: 5-line block ×16, first 2 shown]
	ds_read_b128 v[64:67], v99 offset:29952
	ds_read_b128 v[76:79], v98 offset:13568
	s_waitcnt lgkmcnt(2)
	;;#ASMSTART
	
             v_fmac_f32 v0, v68, v72 
             
	;;#ASMEND
	;;#ASMSTART
	
             v_fmac_f32 v1, v68, v73 
             
	;;#ASMEND
	;; [unrolled: 5-line block ×16, first 2 shown]
	s_waitcnt lgkmcnt(1)
	;;#ASMSTART
	
             v_fmac_f32 v16, v68, v64 
             
	;;#ASMEND
	;;#ASMSTART
	
             v_fmac_f32 v17, v68, v65 
             
	;;#ASMEND
	;; [unrolled: 5-line block ×16, first 2 shown]
	ds_read_b128 v[68:71], v98 offset:13824
	s_waitcnt lgkmcnt(1)
	;;#ASMSTART
	
             v_fmac_f32 v4, v76, v72 
             
	;;#ASMEND
	;;#ASMSTART
	
             v_fmac_f32 v5, v76, v73 
             
	;;#ASMEND
	;; [unrolled: 5-line block ×16, first 2 shown]
	ds_read_b128 v[72:75], v99 offset:30208
	;;#ASMSTART
	
             v_fmac_f32 v8, v76, v64 
             
	;;#ASMEND
	;;#ASMSTART
	
             v_fmac_f32 v9, v76, v65 
             
	;;#ASMEND
	;; [unrolled: 5-line block ×16, first 2 shown]
	ds_read_b128 v[64:67], v99 offset:30464
	ds_read_b128 v[76:79], v98 offset:14080
	s_waitcnt lgkmcnt(2)
	;;#ASMSTART
	
             v_fmac_f32 v0, v68, v72 
             
	;;#ASMEND
	;;#ASMSTART
	
             v_fmac_f32 v1, v68, v73 
             
	;;#ASMEND
	;; [unrolled: 5-line block ×16, first 2 shown]
	s_waitcnt lgkmcnt(1)
	;;#ASMSTART
	
             v_fmac_f32 v16, v68, v64 
             
	;;#ASMEND
	;;#ASMSTART
	
             v_fmac_f32 v17, v68, v65 
             
	;;#ASMEND
	;; [unrolled: 5-line block ×16, first 2 shown]
	ds_read_b128 v[68:71], v98 offset:14336
	s_waitcnt lgkmcnt(1)
	;;#ASMSTART
	
             v_fmac_f32 v4, v76, v72 
             
	;;#ASMEND
	;;#ASMSTART
	
             v_fmac_f32 v5, v76, v73 
             
	;;#ASMEND
	;;#ASMSTART
	
             v_fmac_f32 v6, v76, v74 
             
	;;#ASMEND
	;;#ASMSTART
	
             v_fmac_f32 v7, v76, v75 
             
	;;#ASMEND
	;;#ASMSTART
	
             v_fmac_f32 v28, v77, v72 
             
	;;#ASMEND
	;;#ASMSTART
	
             v_fmac_f32 v29, v77, v73 
             
	;;#ASMEND
	;;#ASMSTART
	
             v_fmac_f32 v30, v77, v74 
             
	;;#ASMEND
	;;#ASMSTART
	
             v_fmac_f32 v31, v77, v75 
             
	;;#ASMEND
	;;#ASMSTART
	
             v_fmac_f32 v48, v78, v72 
             
	;;#ASMEND
	;;#ASMSTART
	
             v_fmac_f32 v49, v78, v73 
             
	;;#ASMEND
	;;#ASMSTART
	
             v_fmac_f32 v50, v78, v74 
             
	;;#ASMEND
	;;#ASMSTART
	
             v_fmac_f32 v51, v78, v75 
             
	;;#ASMEND
	;;#ASMSTART
	
             v_fmac_f32 v56, v79, v72 
             
	;;#ASMEND
	;;#ASMSTART
	
             v_fmac_f32 v57, v79, v73 
             
	;;#ASMEND
	;;#ASMSTART
	
             v_fmac_f32 v58, v79, v74 
             
	;;#ASMEND
	;;#ASMSTART
	
             v_fmac_f32 v59, v79, v75 
             
	;;#ASMEND
	ds_read_b128 v[72:75], v99 offset:30720
	;;#ASMSTART
	
             v_fmac_f32 v8, v76, v64 
             
	;;#ASMEND
	;;#ASMSTART
	
             v_fmac_f32 v9, v76, v65 
             
	;;#ASMEND
	;; [unrolled: 5-line block ×16, first 2 shown]
	ds_read_b128 v[64:67], v99 offset:30976
	ds_read_b128 v[76:79], v98 offset:14592
	s_waitcnt lgkmcnt(2)
	;;#ASMSTART
	
             v_fmac_f32 v0, v68, v72 
             
	;;#ASMEND
	;;#ASMSTART
	
             v_fmac_f32 v1, v68, v73 
             
	;;#ASMEND
	;;#ASMSTART
	
             v_fmac_f32 v2, v68, v74 
             
	;;#ASMEND
	;;#ASMSTART
	
             v_fmac_f32 v3, v68, v75 
             
	;;#ASMEND
	;;#ASMSTART
	
             v_fmac_f32 v12, v69, v72 
             
	;;#ASMEND
	;;#ASMSTART
	
             v_fmac_f32 v13, v69, v73 
             
	;;#ASMEND
	;;#ASMSTART
	
             v_fmac_f32 v14, v69, v74 
             
	;;#ASMEND
	;;#ASMSTART
	
             v_fmac_f32 v15, v69, v75 
             
	;;#ASMEND
	;;#ASMSTART
	
             v_fmac_f32 v24, v70, v72 
             
	;;#ASMEND
	;;#ASMSTART
	
             v_fmac_f32 v25, v70, v73 
             
	;;#ASMEND
	;;#ASMSTART
	
             v_fmac_f32 v26, v70, v74 
             
	;;#ASMEND
	;;#ASMSTART
	
             v_fmac_f32 v27, v70, v75 
             
	;;#ASMEND
	;;#ASMSTART
	
             v_fmac_f32 v20, v71, v72 
             
	;;#ASMEND
	;;#ASMSTART
	
             v_fmac_f32 v21, v71, v73 
             
	;;#ASMEND
	;;#ASMSTART
	
             v_fmac_f32 v22, v71, v74 
             
	;;#ASMEND
	;;#ASMSTART
	
             v_fmac_f32 v23, v71, v75 
             
	;;#ASMEND
	s_waitcnt lgkmcnt(1)
	;;#ASMSTART
	
             v_fmac_f32 v16, v68, v64 
             
	;;#ASMEND
	;;#ASMSTART
	
             v_fmac_f32 v17, v68, v65 
             
	;;#ASMEND
	;; [unrolled: 5-line block ×16, first 2 shown]
	ds_read_b128 v[68:71], v98 offset:14848
	s_waitcnt lgkmcnt(1)
	;;#ASMSTART
	
             v_fmac_f32 v4, v76, v72 
             
	;;#ASMEND
	;;#ASMSTART
	
             v_fmac_f32 v5, v76, v73 
             
	;;#ASMEND
	;; [unrolled: 5-line block ×16, first 2 shown]
	ds_read_b128 v[72:75], v99 offset:31232
	;;#ASMSTART
	
             v_fmac_f32 v8, v76, v64 
             
	;;#ASMEND
	;;#ASMSTART
	
             v_fmac_f32 v9, v76, v65 
             
	;;#ASMEND
	;; [unrolled: 5-line block ×16, first 2 shown]
	ds_read_b128 v[64:67], v99 offset:31488
	ds_read_b128 v[76:79], v98 offset:15104
	s_waitcnt lgkmcnt(2)
	;;#ASMSTART
	
             v_fmac_f32 v0, v68, v72 
             
	;;#ASMEND
	;;#ASMSTART
	
             v_fmac_f32 v1, v68, v73 
             
	;;#ASMEND
	;;#ASMSTART
	
             v_fmac_f32 v2, v68, v74 
             
	;;#ASMEND
	;;#ASMSTART
	
             v_fmac_f32 v3, v68, v75 
             
	;;#ASMEND
	;;#ASMSTART
	
             v_fmac_f32 v12, v69, v72 
             
	;;#ASMEND
	;;#ASMSTART
	
             v_fmac_f32 v13, v69, v73 
             
	;;#ASMEND
	;;#ASMSTART
	
             v_fmac_f32 v14, v69, v74 
             
	;;#ASMEND
	;;#ASMSTART
	
             v_fmac_f32 v15, v69, v75 
             
	;;#ASMEND
	;;#ASMSTART
	
             v_fmac_f32 v24, v70, v72 
             
	;;#ASMEND
	;;#ASMSTART
	
             v_fmac_f32 v25, v70, v73 
             
	;;#ASMEND
	;;#ASMSTART
	
             v_fmac_f32 v26, v70, v74 
             
	;;#ASMEND
	;;#ASMSTART
	
             v_fmac_f32 v27, v70, v75 
             
	;;#ASMEND
	;;#ASMSTART
	
             v_fmac_f32 v20, v71, v72 
             
	;;#ASMEND
	;;#ASMSTART
	
             v_fmac_f32 v21, v71, v73 
             
	;;#ASMEND
	;;#ASMSTART
	
             v_fmac_f32 v22, v71, v74 
             
	;;#ASMEND
	;;#ASMSTART
	
             v_fmac_f32 v23, v71, v75 
             
	;;#ASMEND
	s_waitcnt lgkmcnt(1)
	;;#ASMSTART
	
             v_fmac_f32 v16, v68, v64 
             
	;;#ASMEND
	;;#ASMSTART
	
             v_fmac_f32 v17, v68, v65 
             
	;;#ASMEND
	;; [unrolled: 5-line block ×16, first 2 shown]
	ds_read_b128 v[68:71], v98 offset:15360
	s_waitcnt lgkmcnt(1)
	;;#ASMSTART
	
             v_fmac_f32 v4, v76, v72 
             
	;;#ASMEND
	;;#ASMSTART
	
             v_fmac_f32 v5, v76, v73 
             
	;;#ASMEND
	;; [unrolled: 5-line block ×16, first 2 shown]
	ds_read_b128 v[72:75], v99 offset:31744
	;;#ASMSTART
	
             v_fmac_f32 v8, v76, v64 
             
	;;#ASMEND
	;;#ASMSTART
	
             v_fmac_f32 v9, v76, v65 
             
	;;#ASMEND
	;; [unrolled: 5-line block ×16, first 2 shown]
	ds_read_b128 v[64:67], v99 offset:32000
	ds_read_b128 v[80:83], v98 offset:15616
	s_waitcnt lgkmcnt(2)
	;;#ASMSTART
	
             v_fmac_f32 v0, v68, v72 
             
	;;#ASMEND
	;;#ASMSTART
	
             v_fmac_f32 v1, v68, v73 
             
	;;#ASMEND
	;; [unrolled: 5-line block ×16, first 2 shown]
	s_waitcnt lgkmcnt(1)
	;;#ASMSTART
	
             v_fmac_f32 v16, v68, v64 
             
	;;#ASMEND
	;;#ASMSTART
	
             v_fmac_f32 v17, v68, v65 
             
	;;#ASMEND
	;;#ASMSTART
	
             v_fmac_f32 v18, v68, v66 
             
	;;#ASMEND
	;;#ASMSTART
	
             v_fmac_f32 v19, v68, v67 
             
	;;#ASMEND
	;;#ASMSTART
	
             v_fmac_f32 v40, v69, v64 
             
	;;#ASMEND
	;;#ASMSTART
	
             v_fmac_f32 v41, v69, v65 
             
	;;#ASMEND
	;;#ASMSTART
	
             v_fmac_f32 v42, v69, v66 
             
	;;#ASMEND
	;;#ASMSTART
	
             v_fmac_f32 v43, v69, v67 
             
	;;#ASMEND
	;;#ASMSTART
	
             v_fmac_f32 v32, v70, v64 
             
	;;#ASMEND
	;;#ASMSTART
	
             v_fmac_f32 v33, v70, v65 
             
	;;#ASMEND
	;;#ASMSTART
	
             v_fmac_f32 v34, v70, v66 
             
	;;#ASMEND
	;;#ASMSTART
	
             v_fmac_f32 v35, v70, v67 
             
	;;#ASMEND
	;;#ASMSTART
	
             v_fmac_f32 v44, v71, v64 
             
	;;#ASMEND
	;;#ASMSTART
	
             v_fmac_f32 v45, v71, v65 
             
	;;#ASMEND
	;;#ASMSTART
	
             v_fmac_f32 v46, v71, v66 
             
	;;#ASMEND
	;;#ASMSTART
	
             v_fmac_f32 v47, v71, v67 
             
	;;#ASMEND
	ds_read_b128 v[76:79], v98 offset:15872
	s_waitcnt lgkmcnt(1)
	;;#ASMSTART
	
             v_fmac_f32 v4, v80, v72 
             
	;;#ASMEND
	;;#ASMSTART
	
             v_fmac_f32 v5, v80, v73 
             
	;;#ASMEND
	;; [unrolled: 5-line block ×16, first 2 shown]
	ds_read_b128 v[72:75], v99 offset:32256
	;;#ASMSTART
	
             v_fmac_f32 v8, v80, v64 
             
	;;#ASMEND
	;;#ASMSTART
	
             v_fmac_f32 v9, v80, v65 
             
	;;#ASMEND
	;; [unrolled: 5-line block ×16, first 2 shown]
	ds_read_b128 v[64:67], v99 offset:32512
	ds_read_b128 v[68:71], v98 offset:16128
	s_waitcnt lgkmcnt(2)
	;;#ASMSTART
	
             v_fmac_f32 v0, v76, v72 
             
	;;#ASMEND
	;;#ASMSTART
	
             v_fmac_f32 v1, v76, v73 
             
	;;#ASMEND
	;; [unrolled: 5-line block ×16, first 2 shown]
	s_waitcnt lgkmcnt(1)
	;;#ASMSTART
	
             v_fmac_f32 v16, v76, v64 
             
	;;#ASMEND
	;;#ASMSTART
	
             v_fmac_f32 v17, v76, v65 
             
	;;#ASMEND
	;; [unrolled: 5-line block ×16, first 2 shown]
	s_waitcnt lgkmcnt(0)
	;;#ASMSTART
	
             v_fmac_f32 v4, v68, v72 
             
	;;#ASMEND
	;;#ASMSTART
	
             v_fmac_f32 v5, v68, v73 
             
	;;#ASMEND
	;; [unrolled: 5-line block ×29, first 2 shown]
	v_add_u32_e32 v64, s3, v96
	v_mul_lo_u32 v64, v64, s16
	;;#ASMSTART
	
             v_fmac_f32 v61, v71, v65 
             
	;;#ASMEND
	s_lshl_b32 s2, s2, 2
	s_and_b32 s1, s1, 0xffff
	v_add3_u32 v64, s17, v97, v64
	s_mov_b32 s3, 0x20000
	v_lshlrev_b32_e32 v65, 2, v64
	;;#ASMSTART
	
             v_fmac_f32 v62, v71, v66 
             
	;;#ASMEND
	;;#ASMSTART
	
             v_fmac_f32 v63, v71, v67 
             
	;;#ASMEND
	buffer_store_dwordx4 v[0:3], v65, s[0:3], 0 offen
	s_nop 0
	v_add_u32_e32 v0, 64, v64
	v_lshlrev_b32_e32 v1, 2, v0
	v_add_lshl_u32 v0, v0, s16, 2
	buffer_store_dwordx4 v[16:19], v1, s[0:3], 0 offen
	buffer_store_dwordx4 v[40:43], v0, s[0:3], 0 offen
	v_add_u32_e32 v0, s16, v64
	v_lshlrev_b32_e32 v1, 2, v0
	v_add_u32_e32 v0, s16, v0
	buffer_store_dwordx4 v[12:15], v1, s[0:3], 0 offen
	v_lshlrev_b32_e32 v1, 2, v0
	buffer_store_dwordx4 v[24:27], v1, s[0:3], 0 offen
	v_add_u32_e32 v1, 64, v0
	v_lshlrev_b32_e32 v2, 2, v1
	v_add_lshl_u32 v1, v1, s16, 2
	v_add_u32_e32 v0, s16, v0
	buffer_store_dwordx4 v[32:35], v2, s[0:3], 0 offen
	buffer_store_dwordx4 v[44:47], v1, s[0:3], 0 offen
	v_lshlrev_b32_e32 v1, 2, v0
	v_lshl_add_u32 v0, s16, 6, v0
	buffer_store_dwordx4 v[20:23], v1, s[0:3], 0 offen
	v_lshlrev_b32_e32 v1, 2, v0
	v_add_u32_e32 v0, 64, v0
	buffer_store_dwordx4 v[56:59], v1, s[0:3], 0 offen
	v_lshlrev_b32_e32 v1, 2, v0
	v_subrev_u32_e32 v0, s16, v0
	buffer_store_dwordx4 v[60:63], v1, s[0:3], 0 offen
	v_lshlrev_b32_e32 v1, 2, v0
	v_subrev_u32_e32 v0, 64, v0
	;; [unrolled: 3-line block ×3, first 2 shown]
	buffer_store_dwordx4 v[48:51], v1, s[0:3], 0 offen
	v_lshlrev_b32_e32 v1, 2, v0
	v_add_u32_e32 v0, 64, v0
	buffer_store_dwordx4 v[28:31], v1, s[0:3], 0 offen
	v_lshlrev_b32_e32 v1, 2, v0
	v_subrev_u32_e32 v0, s16, v0
	v_lshlrev_b32_e32 v0, 2, v0
	buffer_store_dwordx4 v[36:39], v1, s[0:3], 0 offen
	buffer_store_dwordx4 v[8:11], v0, s[0:3], 0 offen
	v_add_u32_e32 v0, 0xffffff00, v0
	buffer_store_dwordx4 v[4:7], v0, s[0:3], 0 offen
	s_endpgm
	.section	.rodata,"a",@progbits
	.p2align	6, 0x0
	.amdhsa_kernel _ZN2ck19kernel_gemm_dl_v1r3INS_28GridwiseGemmDl_km_kn_mn_v1r3ILi256EfffLNS_25InMemoryDataOperationEnumE0ENS_16TensorDescriptorINS_5TupleIJNS_5EmbedINS4_IJiiEEENS4_IJNS_17integral_constantIiLi1EEEiEEELb0EEENS_7UnMergeINS4_IJiS8_EEELb0EEENS_11PassThroughIiEEEEENS4_IJNS_8SequenceIJLi0EEEENSH_IJLi2EEEENSH_IJLi1EEEEEEENS4_IJNSH_IJLi1ELi2EEEENSH_IJLi3ELi4EEEENSH_IJLi5EEEEEEENSH_IJLi3ELi5ELi4EEEElEENS3_INS4_IJNS5_IS6_SC_Lb0EEESD_SF_EEENS4_IJSI_SK_SJ_EEESP_SQ_lEENS3_INS4_IJSS_SF_SF_EEESU_NS4_IJSM_NSH_IJLi3EEEENSH_IJLi4EEEEEEESN_lEELi128ELi128ELi16ELi1ELi4ELi4ELi1ENSH_IJLi8ELi2EEEES11_NSH_IJLi2ELi1ELi4ELi1EEEENSH_IJLi8ELi1ELi32ELi1EEEENSH_IJLi0ELi3ELi1ELi2EEEES14_NSH_IJLi1ELi1ELi4ELi1EEEES14_S15_S12_S13_S14_S14_S15_S14_S15_NSH_IJLi0ELi1ELi2ELi3ELi4ELi5EEEELi5ELi4EEEffNS3_INS4_IJSA_SD_SF_SF_NSB_INS4_IJiNS7_IiLi128EEEEEELb0EEENSE_IS8_EEEEENS4_IJSI_SJ_SK_SX_SO_SY_EEENS4_IJSM_SN_SO_NSH_IJLi6EEEENSH_IJLi7ELi8EEEENSH_IJLi9EEEEEEENSH_IJLi6ELi7ELi8ELi9EEEElEENS3_INS4_IJSS_SD_SF_SF_S1A_S1B_EEENS4_IJSI_SK_SJ_SX_SO_SY_EEES1H_S1I_lEENS3_INS4_IJSS_SF_SF_NSB_INS4_IJiNS7_IiLi2EEENS7_IiLi64EEEEEELb0EEES1Q_EEENS4_IJSI_SK_SJ_SX_SY_EEENS4_IJSM_SX_SY_NSH_IJLi5ELi6ELi7EEEENSH_IJLi8ELi9ELi10EEEEEEENSH_IJLi5ELi6ELi7ELi8ELi9ELi10EEEElEENS_31BlockToCTileMap_M00_N00_M01_N01ILi128ELi128ES10_Lb0EEELb1ELb1EEEvPKT0_S22_PT1_T2_T3_T4_T5_
		.amdhsa_group_segment_fixed_size 32768
		.amdhsa_private_segment_fixed_size 0
		.amdhsa_kernarg_size 328
		.amdhsa_user_sgpr_count 6
		.amdhsa_user_sgpr_private_segment_buffer 1
		.amdhsa_user_sgpr_dispatch_ptr 0
		.amdhsa_user_sgpr_queue_ptr 0
		.amdhsa_user_sgpr_kernarg_segment_ptr 1
		.amdhsa_user_sgpr_dispatch_id 0
		.amdhsa_user_sgpr_flat_scratch_init 0
		.amdhsa_user_sgpr_private_segment_size 0
		.amdhsa_uses_dynamic_stack 0
		.amdhsa_system_sgpr_private_segment_wavefront_offset 0
		.amdhsa_system_sgpr_workgroup_id_x 1
		.amdhsa_system_sgpr_workgroup_id_y 0
		.amdhsa_system_sgpr_workgroup_id_z 0
		.amdhsa_system_sgpr_workgroup_info 0
		.amdhsa_system_vgpr_workitem_id 0
		.amdhsa_next_free_vgpr 117
		.amdhsa_next_free_sgpr 98
		.amdhsa_reserve_vcc 0
		.amdhsa_reserve_flat_scratch 0
		.amdhsa_float_round_mode_32 0
		.amdhsa_float_round_mode_16_64 0
		.amdhsa_float_denorm_mode_32 3
		.amdhsa_float_denorm_mode_16_64 3
		.amdhsa_dx10_clamp 1
		.amdhsa_ieee_mode 1
		.amdhsa_fp16_overflow 0
		.amdhsa_exception_fp_ieee_invalid_op 0
		.amdhsa_exception_fp_denorm_src 0
		.amdhsa_exception_fp_ieee_div_zero 0
		.amdhsa_exception_fp_ieee_overflow 0
		.amdhsa_exception_fp_ieee_underflow 0
		.amdhsa_exception_fp_ieee_inexact 0
		.amdhsa_exception_int_div_zero 0
	.end_amdhsa_kernel
	.section	.text._ZN2ck19kernel_gemm_dl_v1r3INS_28GridwiseGemmDl_km_kn_mn_v1r3ILi256EfffLNS_25InMemoryDataOperationEnumE0ENS_16TensorDescriptorINS_5TupleIJNS_5EmbedINS4_IJiiEEENS4_IJNS_17integral_constantIiLi1EEEiEEELb0EEENS_7UnMergeINS4_IJiS8_EEELb0EEENS_11PassThroughIiEEEEENS4_IJNS_8SequenceIJLi0EEEENSH_IJLi2EEEENSH_IJLi1EEEEEEENS4_IJNSH_IJLi1ELi2EEEENSH_IJLi3ELi4EEEENSH_IJLi5EEEEEEENSH_IJLi3ELi5ELi4EEEElEENS3_INS4_IJNS5_IS6_SC_Lb0EEESD_SF_EEENS4_IJSI_SK_SJ_EEESP_SQ_lEENS3_INS4_IJSS_SF_SF_EEESU_NS4_IJSM_NSH_IJLi3EEEENSH_IJLi4EEEEEEESN_lEELi128ELi128ELi16ELi1ELi4ELi4ELi1ENSH_IJLi8ELi2EEEES11_NSH_IJLi2ELi1ELi4ELi1EEEENSH_IJLi8ELi1ELi32ELi1EEEENSH_IJLi0ELi3ELi1ELi2EEEES14_NSH_IJLi1ELi1ELi4ELi1EEEES14_S15_S12_S13_S14_S14_S15_S14_S15_NSH_IJLi0ELi1ELi2ELi3ELi4ELi5EEEELi5ELi4EEEffNS3_INS4_IJSA_SD_SF_SF_NSB_INS4_IJiNS7_IiLi128EEEEEELb0EEENSE_IS8_EEEEENS4_IJSI_SJ_SK_SX_SO_SY_EEENS4_IJSM_SN_SO_NSH_IJLi6EEEENSH_IJLi7ELi8EEEENSH_IJLi9EEEEEEENSH_IJLi6ELi7ELi8ELi9EEEElEENS3_INS4_IJSS_SD_SF_SF_S1A_S1B_EEENS4_IJSI_SK_SJ_SX_SO_SY_EEES1H_S1I_lEENS3_INS4_IJSS_SF_SF_NSB_INS4_IJiNS7_IiLi2EEENS7_IiLi64EEEEEELb0EEES1Q_EEENS4_IJSI_SK_SJ_SX_SY_EEENS4_IJSM_SX_SY_NSH_IJLi5ELi6ELi7EEEENSH_IJLi8ELi9ELi10EEEEEEENSH_IJLi5ELi6ELi7ELi8ELi9ELi10EEEElEENS_31BlockToCTileMap_M00_N00_M01_N01ILi128ELi128ES10_Lb0EEELb1ELb1EEEvPKT0_S22_PT1_T2_T3_T4_T5_,"axG",@progbits,_ZN2ck19kernel_gemm_dl_v1r3INS_28GridwiseGemmDl_km_kn_mn_v1r3ILi256EfffLNS_25InMemoryDataOperationEnumE0ENS_16TensorDescriptorINS_5TupleIJNS_5EmbedINS4_IJiiEEENS4_IJNS_17integral_constantIiLi1EEEiEEELb0EEENS_7UnMergeINS4_IJiS8_EEELb0EEENS_11PassThroughIiEEEEENS4_IJNS_8SequenceIJLi0EEEENSH_IJLi2EEEENSH_IJLi1EEEEEEENS4_IJNSH_IJLi1ELi2EEEENSH_IJLi3ELi4EEEENSH_IJLi5EEEEEEENSH_IJLi3ELi5ELi4EEEElEENS3_INS4_IJNS5_IS6_SC_Lb0EEESD_SF_EEENS4_IJSI_SK_SJ_EEESP_SQ_lEENS3_INS4_IJSS_SF_SF_EEESU_NS4_IJSM_NSH_IJLi3EEEENSH_IJLi4EEEEEEESN_lEELi128ELi128ELi16ELi1ELi4ELi4ELi1ENSH_IJLi8ELi2EEEES11_NSH_IJLi2ELi1ELi4ELi1EEEENSH_IJLi8ELi1ELi32ELi1EEEENSH_IJLi0ELi3ELi1ELi2EEEES14_NSH_IJLi1ELi1ELi4ELi1EEEES14_S15_S12_S13_S14_S14_S15_S14_S15_NSH_IJLi0ELi1ELi2ELi3ELi4ELi5EEEELi5ELi4EEEffNS3_INS4_IJSA_SD_SF_SF_NSB_INS4_IJiNS7_IiLi128EEEEEELb0EEENSE_IS8_EEEEENS4_IJSI_SJ_SK_SX_SO_SY_EEENS4_IJSM_SN_SO_NSH_IJLi6EEEENSH_IJLi7ELi8EEEENSH_IJLi9EEEEEEENSH_IJLi6ELi7ELi8ELi9EEEElEENS3_INS4_IJSS_SD_SF_SF_S1A_S1B_EEENS4_IJSI_SK_SJ_SX_SO_SY_EEES1H_S1I_lEENS3_INS4_IJSS_SF_SF_NSB_INS4_IJiNS7_IiLi2EEENS7_IiLi64EEEEEELb0EEES1Q_EEENS4_IJSI_SK_SJ_SX_SY_EEENS4_IJSM_SX_SY_NSH_IJLi5ELi6ELi7EEEENSH_IJLi8ELi9ELi10EEEEEEENSH_IJLi5ELi6ELi7ELi8ELi9ELi10EEEElEENS_31BlockToCTileMap_M00_N00_M01_N01ILi128ELi128ES10_Lb0EEELb1ELb1EEEvPKT0_S22_PT1_T2_T3_T4_T5_,comdat
.Lfunc_end1:
	.size	_ZN2ck19kernel_gemm_dl_v1r3INS_28GridwiseGemmDl_km_kn_mn_v1r3ILi256EfffLNS_25InMemoryDataOperationEnumE0ENS_16TensorDescriptorINS_5TupleIJNS_5EmbedINS4_IJiiEEENS4_IJNS_17integral_constantIiLi1EEEiEEELb0EEENS_7UnMergeINS4_IJiS8_EEELb0EEENS_11PassThroughIiEEEEENS4_IJNS_8SequenceIJLi0EEEENSH_IJLi2EEEENSH_IJLi1EEEEEEENS4_IJNSH_IJLi1ELi2EEEENSH_IJLi3ELi4EEEENSH_IJLi5EEEEEEENSH_IJLi3ELi5ELi4EEEElEENS3_INS4_IJNS5_IS6_SC_Lb0EEESD_SF_EEENS4_IJSI_SK_SJ_EEESP_SQ_lEENS3_INS4_IJSS_SF_SF_EEESU_NS4_IJSM_NSH_IJLi3EEEENSH_IJLi4EEEEEEESN_lEELi128ELi128ELi16ELi1ELi4ELi4ELi1ENSH_IJLi8ELi2EEEES11_NSH_IJLi2ELi1ELi4ELi1EEEENSH_IJLi8ELi1ELi32ELi1EEEENSH_IJLi0ELi3ELi1ELi2EEEES14_NSH_IJLi1ELi1ELi4ELi1EEEES14_S15_S12_S13_S14_S14_S15_S14_S15_NSH_IJLi0ELi1ELi2ELi3ELi4ELi5EEEELi5ELi4EEEffNS3_INS4_IJSA_SD_SF_SF_NSB_INS4_IJiNS7_IiLi128EEEEEELb0EEENSE_IS8_EEEEENS4_IJSI_SJ_SK_SX_SO_SY_EEENS4_IJSM_SN_SO_NSH_IJLi6EEEENSH_IJLi7ELi8EEEENSH_IJLi9EEEEEEENSH_IJLi6ELi7ELi8ELi9EEEElEENS3_INS4_IJSS_SD_SF_SF_S1A_S1B_EEENS4_IJSI_SK_SJ_SX_SO_SY_EEES1H_S1I_lEENS3_INS4_IJSS_SF_SF_NSB_INS4_IJiNS7_IiLi2EEENS7_IiLi64EEEEEELb0EEES1Q_EEENS4_IJSI_SK_SJ_SX_SY_EEENS4_IJSM_SX_SY_NSH_IJLi5ELi6ELi7EEEENSH_IJLi8ELi9ELi10EEEEEEENSH_IJLi5ELi6ELi7ELi8ELi9ELi10EEEElEENS_31BlockToCTileMap_M00_N00_M01_N01ILi128ELi128ES10_Lb0EEELb1ELb1EEEvPKT0_S22_PT1_T2_T3_T4_T5_, .Lfunc_end1-_ZN2ck19kernel_gemm_dl_v1r3INS_28GridwiseGemmDl_km_kn_mn_v1r3ILi256EfffLNS_25InMemoryDataOperationEnumE0ENS_16TensorDescriptorINS_5TupleIJNS_5EmbedINS4_IJiiEEENS4_IJNS_17integral_constantIiLi1EEEiEEELb0EEENS_7UnMergeINS4_IJiS8_EEELb0EEENS_11PassThroughIiEEEEENS4_IJNS_8SequenceIJLi0EEEENSH_IJLi2EEEENSH_IJLi1EEEEEEENS4_IJNSH_IJLi1ELi2EEEENSH_IJLi3ELi4EEEENSH_IJLi5EEEEEEENSH_IJLi3ELi5ELi4EEEElEENS3_INS4_IJNS5_IS6_SC_Lb0EEESD_SF_EEENS4_IJSI_SK_SJ_EEESP_SQ_lEENS3_INS4_IJSS_SF_SF_EEESU_NS4_IJSM_NSH_IJLi3EEEENSH_IJLi4EEEEEEESN_lEELi128ELi128ELi16ELi1ELi4ELi4ELi1ENSH_IJLi8ELi2EEEES11_NSH_IJLi2ELi1ELi4ELi1EEEENSH_IJLi8ELi1ELi32ELi1EEEENSH_IJLi0ELi3ELi1ELi2EEEES14_NSH_IJLi1ELi1ELi4ELi1EEEES14_S15_S12_S13_S14_S14_S15_S14_S15_NSH_IJLi0ELi1ELi2ELi3ELi4ELi5EEEELi5ELi4EEEffNS3_INS4_IJSA_SD_SF_SF_NSB_INS4_IJiNS7_IiLi128EEEEEELb0EEENSE_IS8_EEEEENS4_IJSI_SJ_SK_SX_SO_SY_EEENS4_IJSM_SN_SO_NSH_IJLi6EEEENSH_IJLi7ELi8EEEENSH_IJLi9EEEEEEENSH_IJLi6ELi7ELi8ELi9EEEElEENS3_INS4_IJSS_SD_SF_SF_S1A_S1B_EEENS4_IJSI_SK_SJ_SX_SO_SY_EEES1H_S1I_lEENS3_INS4_IJSS_SF_SF_NSB_INS4_IJiNS7_IiLi2EEENS7_IiLi64EEEEEELb0EEES1Q_EEENS4_IJSI_SK_SJ_SX_SY_EEENS4_IJSM_SX_SY_NSH_IJLi5ELi6ELi7EEEENSH_IJLi8ELi9ELi10EEEEEEENSH_IJLi5ELi6ELi7ELi8ELi9ELi10EEEElEENS_31BlockToCTileMap_M00_N00_M01_N01ILi128ELi128ES10_Lb0EEELb1ELb1EEEvPKT0_S22_PT1_T2_T3_T4_T5_
                                        ; -- End function
	.set _ZN2ck19kernel_gemm_dl_v1r3INS_28GridwiseGemmDl_km_kn_mn_v1r3ILi256EfffLNS_25InMemoryDataOperationEnumE0ENS_16TensorDescriptorINS_5TupleIJNS_5EmbedINS4_IJiiEEENS4_IJNS_17integral_constantIiLi1EEEiEEELb0EEENS_7UnMergeINS4_IJiS8_EEELb0EEENS_11PassThroughIiEEEEENS4_IJNS_8SequenceIJLi0EEEENSH_IJLi2EEEENSH_IJLi1EEEEEEENS4_IJNSH_IJLi1ELi2EEEENSH_IJLi3ELi4EEEENSH_IJLi5EEEEEEENSH_IJLi3ELi5ELi4EEEElEENS3_INS4_IJNS5_IS6_SC_Lb0EEESD_SF_EEENS4_IJSI_SK_SJ_EEESP_SQ_lEENS3_INS4_IJSS_SF_SF_EEESU_NS4_IJSM_NSH_IJLi3EEEENSH_IJLi4EEEEEEESN_lEELi128ELi128ELi16ELi1ELi4ELi4ELi1ENSH_IJLi8ELi2EEEES11_NSH_IJLi2ELi1ELi4ELi1EEEENSH_IJLi8ELi1ELi32ELi1EEEENSH_IJLi0ELi3ELi1ELi2EEEES14_NSH_IJLi1ELi1ELi4ELi1EEEES14_S15_S12_S13_S14_S14_S15_S14_S15_NSH_IJLi0ELi1ELi2ELi3ELi4ELi5EEEELi5ELi4EEEffNS3_INS4_IJSA_SD_SF_SF_NSB_INS4_IJiNS7_IiLi128EEEEEELb0EEENSE_IS8_EEEEENS4_IJSI_SJ_SK_SX_SO_SY_EEENS4_IJSM_SN_SO_NSH_IJLi6EEEENSH_IJLi7ELi8EEEENSH_IJLi9EEEEEEENSH_IJLi6ELi7ELi8ELi9EEEElEENS3_INS4_IJSS_SD_SF_SF_S1A_S1B_EEENS4_IJSI_SK_SJ_SX_SO_SY_EEES1H_S1I_lEENS3_INS4_IJSS_SF_SF_NSB_INS4_IJiNS7_IiLi2EEENS7_IiLi64EEEEEELb0EEES1Q_EEENS4_IJSI_SK_SJ_SX_SY_EEENS4_IJSM_SX_SY_NSH_IJLi5ELi6ELi7EEEENSH_IJLi8ELi9ELi10EEEEEEENSH_IJLi5ELi6ELi7ELi8ELi9ELi10EEEElEENS_31BlockToCTileMap_M00_N00_M01_N01ILi128ELi128ES10_Lb0EEELb1ELb1EEEvPKT0_S22_PT1_T2_T3_T4_T5_.num_vgpr, 117
	.set _ZN2ck19kernel_gemm_dl_v1r3INS_28GridwiseGemmDl_km_kn_mn_v1r3ILi256EfffLNS_25InMemoryDataOperationEnumE0ENS_16TensorDescriptorINS_5TupleIJNS_5EmbedINS4_IJiiEEENS4_IJNS_17integral_constantIiLi1EEEiEEELb0EEENS_7UnMergeINS4_IJiS8_EEELb0EEENS_11PassThroughIiEEEEENS4_IJNS_8SequenceIJLi0EEEENSH_IJLi2EEEENSH_IJLi1EEEEEEENS4_IJNSH_IJLi1ELi2EEEENSH_IJLi3ELi4EEEENSH_IJLi5EEEEEEENSH_IJLi3ELi5ELi4EEEElEENS3_INS4_IJNS5_IS6_SC_Lb0EEESD_SF_EEENS4_IJSI_SK_SJ_EEESP_SQ_lEENS3_INS4_IJSS_SF_SF_EEESU_NS4_IJSM_NSH_IJLi3EEEENSH_IJLi4EEEEEEESN_lEELi128ELi128ELi16ELi1ELi4ELi4ELi1ENSH_IJLi8ELi2EEEES11_NSH_IJLi2ELi1ELi4ELi1EEEENSH_IJLi8ELi1ELi32ELi1EEEENSH_IJLi0ELi3ELi1ELi2EEEES14_NSH_IJLi1ELi1ELi4ELi1EEEES14_S15_S12_S13_S14_S14_S15_S14_S15_NSH_IJLi0ELi1ELi2ELi3ELi4ELi5EEEELi5ELi4EEEffNS3_INS4_IJSA_SD_SF_SF_NSB_INS4_IJiNS7_IiLi128EEEEEELb0EEENSE_IS8_EEEEENS4_IJSI_SJ_SK_SX_SO_SY_EEENS4_IJSM_SN_SO_NSH_IJLi6EEEENSH_IJLi7ELi8EEEENSH_IJLi9EEEEEEENSH_IJLi6ELi7ELi8ELi9EEEElEENS3_INS4_IJSS_SD_SF_SF_S1A_S1B_EEENS4_IJSI_SK_SJ_SX_SO_SY_EEES1H_S1I_lEENS3_INS4_IJSS_SF_SF_NSB_INS4_IJiNS7_IiLi2EEENS7_IiLi64EEEEEELb0EEES1Q_EEENS4_IJSI_SK_SJ_SX_SY_EEENS4_IJSM_SX_SY_NSH_IJLi5ELi6ELi7EEEENSH_IJLi8ELi9ELi10EEEEEEENSH_IJLi5ELi6ELi7ELi8ELi9ELi10EEEElEENS_31BlockToCTileMap_M00_N00_M01_N01ILi128ELi128ES10_Lb0EEELb1ELb1EEEvPKT0_S22_PT1_T2_T3_T4_T5_.num_agpr, 0
	.set _ZN2ck19kernel_gemm_dl_v1r3INS_28GridwiseGemmDl_km_kn_mn_v1r3ILi256EfffLNS_25InMemoryDataOperationEnumE0ENS_16TensorDescriptorINS_5TupleIJNS_5EmbedINS4_IJiiEEENS4_IJNS_17integral_constantIiLi1EEEiEEELb0EEENS_7UnMergeINS4_IJiS8_EEELb0EEENS_11PassThroughIiEEEEENS4_IJNS_8SequenceIJLi0EEEENSH_IJLi2EEEENSH_IJLi1EEEEEEENS4_IJNSH_IJLi1ELi2EEEENSH_IJLi3ELi4EEEENSH_IJLi5EEEEEEENSH_IJLi3ELi5ELi4EEEElEENS3_INS4_IJNS5_IS6_SC_Lb0EEESD_SF_EEENS4_IJSI_SK_SJ_EEESP_SQ_lEENS3_INS4_IJSS_SF_SF_EEESU_NS4_IJSM_NSH_IJLi3EEEENSH_IJLi4EEEEEEESN_lEELi128ELi128ELi16ELi1ELi4ELi4ELi1ENSH_IJLi8ELi2EEEES11_NSH_IJLi2ELi1ELi4ELi1EEEENSH_IJLi8ELi1ELi32ELi1EEEENSH_IJLi0ELi3ELi1ELi2EEEES14_NSH_IJLi1ELi1ELi4ELi1EEEES14_S15_S12_S13_S14_S14_S15_S14_S15_NSH_IJLi0ELi1ELi2ELi3ELi4ELi5EEEELi5ELi4EEEffNS3_INS4_IJSA_SD_SF_SF_NSB_INS4_IJiNS7_IiLi128EEEEEELb0EEENSE_IS8_EEEEENS4_IJSI_SJ_SK_SX_SO_SY_EEENS4_IJSM_SN_SO_NSH_IJLi6EEEENSH_IJLi7ELi8EEEENSH_IJLi9EEEEEEENSH_IJLi6ELi7ELi8ELi9EEEElEENS3_INS4_IJSS_SD_SF_SF_S1A_S1B_EEENS4_IJSI_SK_SJ_SX_SO_SY_EEES1H_S1I_lEENS3_INS4_IJSS_SF_SF_NSB_INS4_IJiNS7_IiLi2EEENS7_IiLi64EEEEEELb0EEES1Q_EEENS4_IJSI_SK_SJ_SX_SY_EEENS4_IJSM_SX_SY_NSH_IJLi5ELi6ELi7EEEENSH_IJLi8ELi9ELi10EEEEEEENSH_IJLi5ELi6ELi7ELi8ELi9ELi10EEEElEENS_31BlockToCTileMap_M00_N00_M01_N01ILi128ELi128ES10_Lb0EEELb1ELb1EEEvPKT0_S22_PT1_T2_T3_T4_T5_.numbered_sgpr, 31
	.set _ZN2ck19kernel_gemm_dl_v1r3INS_28GridwiseGemmDl_km_kn_mn_v1r3ILi256EfffLNS_25InMemoryDataOperationEnumE0ENS_16TensorDescriptorINS_5TupleIJNS_5EmbedINS4_IJiiEEENS4_IJNS_17integral_constantIiLi1EEEiEEELb0EEENS_7UnMergeINS4_IJiS8_EEELb0EEENS_11PassThroughIiEEEEENS4_IJNS_8SequenceIJLi0EEEENSH_IJLi2EEEENSH_IJLi1EEEEEEENS4_IJNSH_IJLi1ELi2EEEENSH_IJLi3ELi4EEEENSH_IJLi5EEEEEEENSH_IJLi3ELi5ELi4EEEElEENS3_INS4_IJNS5_IS6_SC_Lb0EEESD_SF_EEENS4_IJSI_SK_SJ_EEESP_SQ_lEENS3_INS4_IJSS_SF_SF_EEESU_NS4_IJSM_NSH_IJLi3EEEENSH_IJLi4EEEEEEESN_lEELi128ELi128ELi16ELi1ELi4ELi4ELi1ENSH_IJLi8ELi2EEEES11_NSH_IJLi2ELi1ELi4ELi1EEEENSH_IJLi8ELi1ELi32ELi1EEEENSH_IJLi0ELi3ELi1ELi2EEEES14_NSH_IJLi1ELi1ELi4ELi1EEEES14_S15_S12_S13_S14_S14_S15_S14_S15_NSH_IJLi0ELi1ELi2ELi3ELi4ELi5EEEELi5ELi4EEEffNS3_INS4_IJSA_SD_SF_SF_NSB_INS4_IJiNS7_IiLi128EEEEEELb0EEENSE_IS8_EEEEENS4_IJSI_SJ_SK_SX_SO_SY_EEENS4_IJSM_SN_SO_NSH_IJLi6EEEENSH_IJLi7ELi8EEEENSH_IJLi9EEEEEEENSH_IJLi6ELi7ELi8ELi9EEEElEENS3_INS4_IJSS_SD_SF_SF_S1A_S1B_EEENS4_IJSI_SK_SJ_SX_SO_SY_EEES1H_S1I_lEENS3_INS4_IJSS_SF_SF_NSB_INS4_IJiNS7_IiLi2EEENS7_IiLi64EEEEEELb0EEES1Q_EEENS4_IJSI_SK_SJ_SX_SY_EEENS4_IJSM_SX_SY_NSH_IJLi5ELi6ELi7EEEENSH_IJLi8ELi9ELi10EEEEEEENSH_IJLi5ELi6ELi7ELi8ELi9ELi10EEEElEENS_31BlockToCTileMap_M00_N00_M01_N01ILi128ELi128ES10_Lb0EEELb1ELb1EEEvPKT0_S22_PT1_T2_T3_T4_T5_.num_named_barrier, 0
	.set _ZN2ck19kernel_gemm_dl_v1r3INS_28GridwiseGemmDl_km_kn_mn_v1r3ILi256EfffLNS_25InMemoryDataOperationEnumE0ENS_16TensorDescriptorINS_5TupleIJNS_5EmbedINS4_IJiiEEENS4_IJNS_17integral_constantIiLi1EEEiEEELb0EEENS_7UnMergeINS4_IJiS8_EEELb0EEENS_11PassThroughIiEEEEENS4_IJNS_8SequenceIJLi0EEEENSH_IJLi2EEEENSH_IJLi1EEEEEEENS4_IJNSH_IJLi1ELi2EEEENSH_IJLi3ELi4EEEENSH_IJLi5EEEEEEENSH_IJLi3ELi5ELi4EEEElEENS3_INS4_IJNS5_IS6_SC_Lb0EEESD_SF_EEENS4_IJSI_SK_SJ_EEESP_SQ_lEENS3_INS4_IJSS_SF_SF_EEESU_NS4_IJSM_NSH_IJLi3EEEENSH_IJLi4EEEEEEESN_lEELi128ELi128ELi16ELi1ELi4ELi4ELi1ENSH_IJLi8ELi2EEEES11_NSH_IJLi2ELi1ELi4ELi1EEEENSH_IJLi8ELi1ELi32ELi1EEEENSH_IJLi0ELi3ELi1ELi2EEEES14_NSH_IJLi1ELi1ELi4ELi1EEEES14_S15_S12_S13_S14_S14_S15_S14_S15_NSH_IJLi0ELi1ELi2ELi3ELi4ELi5EEEELi5ELi4EEEffNS3_INS4_IJSA_SD_SF_SF_NSB_INS4_IJiNS7_IiLi128EEEEEELb0EEENSE_IS8_EEEEENS4_IJSI_SJ_SK_SX_SO_SY_EEENS4_IJSM_SN_SO_NSH_IJLi6EEEENSH_IJLi7ELi8EEEENSH_IJLi9EEEEEEENSH_IJLi6ELi7ELi8ELi9EEEElEENS3_INS4_IJSS_SD_SF_SF_S1A_S1B_EEENS4_IJSI_SK_SJ_SX_SO_SY_EEES1H_S1I_lEENS3_INS4_IJSS_SF_SF_NSB_INS4_IJiNS7_IiLi2EEENS7_IiLi64EEEEEELb0EEES1Q_EEENS4_IJSI_SK_SJ_SX_SY_EEENS4_IJSM_SX_SY_NSH_IJLi5ELi6ELi7EEEENSH_IJLi8ELi9ELi10EEEEEEENSH_IJLi5ELi6ELi7ELi8ELi9ELi10EEEElEENS_31BlockToCTileMap_M00_N00_M01_N01ILi128ELi128ES10_Lb0EEELb1ELb1EEEvPKT0_S22_PT1_T2_T3_T4_T5_.private_seg_size, 0
	.set _ZN2ck19kernel_gemm_dl_v1r3INS_28GridwiseGemmDl_km_kn_mn_v1r3ILi256EfffLNS_25InMemoryDataOperationEnumE0ENS_16TensorDescriptorINS_5TupleIJNS_5EmbedINS4_IJiiEEENS4_IJNS_17integral_constantIiLi1EEEiEEELb0EEENS_7UnMergeINS4_IJiS8_EEELb0EEENS_11PassThroughIiEEEEENS4_IJNS_8SequenceIJLi0EEEENSH_IJLi2EEEENSH_IJLi1EEEEEEENS4_IJNSH_IJLi1ELi2EEEENSH_IJLi3ELi4EEEENSH_IJLi5EEEEEEENSH_IJLi3ELi5ELi4EEEElEENS3_INS4_IJNS5_IS6_SC_Lb0EEESD_SF_EEENS4_IJSI_SK_SJ_EEESP_SQ_lEENS3_INS4_IJSS_SF_SF_EEESU_NS4_IJSM_NSH_IJLi3EEEENSH_IJLi4EEEEEEESN_lEELi128ELi128ELi16ELi1ELi4ELi4ELi1ENSH_IJLi8ELi2EEEES11_NSH_IJLi2ELi1ELi4ELi1EEEENSH_IJLi8ELi1ELi32ELi1EEEENSH_IJLi0ELi3ELi1ELi2EEEES14_NSH_IJLi1ELi1ELi4ELi1EEEES14_S15_S12_S13_S14_S14_S15_S14_S15_NSH_IJLi0ELi1ELi2ELi3ELi4ELi5EEEELi5ELi4EEEffNS3_INS4_IJSA_SD_SF_SF_NSB_INS4_IJiNS7_IiLi128EEEEEELb0EEENSE_IS8_EEEEENS4_IJSI_SJ_SK_SX_SO_SY_EEENS4_IJSM_SN_SO_NSH_IJLi6EEEENSH_IJLi7ELi8EEEENSH_IJLi9EEEEEEENSH_IJLi6ELi7ELi8ELi9EEEElEENS3_INS4_IJSS_SD_SF_SF_S1A_S1B_EEENS4_IJSI_SK_SJ_SX_SO_SY_EEES1H_S1I_lEENS3_INS4_IJSS_SF_SF_NSB_INS4_IJiNS7_IiLi2EEENS7_IiLi64EEEEEELb0EEES1Q_EEENS4_IJSI_SK_SJ_SX_SY_EEENS4_IJSM_SX_SY_NSH_IJLi5ELi6ELi7EEEENSH_IJLi8ELi9ELi10EEEEEEENSH_IJLi5ELi6ELi7ELi8ELi9ELi10EEEElEENS_31BlockToCTileMap_M00_N00_M01_N01ILi128ELi128ES10_Lb0EEELb1ELb1EEEvPKT0_S22_PT1_T2_T3_T4_T5_.uses_vcc, 0
	.set _ZN2ck19kernel_gemm_dl_v1r3INS_28GridwiseGemmDl_km_kn_mn_v1r3ILi256EfffLNS_25InMemoryDataOperationEnumE0ENS_16TensorDescriptorINS_5TupleIJNS_5EmbedINS4_IJiiEEENS4_IJNS_17integral_constantIiLi1EEEiEEELb0EEENS_7UnMergeINS4_IJiS8_EEELb0EEENS_11PassThroughIiEEEEENS4_IJNS_8SequenceIJLi0EEEENSH_IJLi2EEEENSH_IJLi1EEEEEEENS4_IJNSH_IJLi1ELi2EEEENSH_IJLi3ELi4EEEENSH_IJLi5EEEEEEENSH_IJLi3ELi5ELi4EEEElEENS3_INS4_IJNS5_IS6_SC_Lb0EEESD_SF_EEENS4_IJSI_SK_SJ_EEESP_SQ_lEENS3_INS4_IJSS_SF_SF_EEESU_NS4_IJSM_NSH_IJLi3EEEENSH_IJLi4EEEEEEESN_lEELi128ELi128ELi16ELi1ELi4ELi4ELi1ENSH_IJLi8ELi2EEEES11_NSH_IJLi2ELi1ELi4ELi1EEEENSH_IJLi8ELi1ELi32ELi1EEEENSH_IJLi0ELi3ELi1ELi2EEEES14_NSH_IJLi1ELi1ELi4ELi1EEEES14_S15_S12_S13_S14_S14_S15_S14_S15_NSH_IJLi0ELi1ELi2ELi3ELi4ELi5EEEELi5ELi4EEEffNS3_INS4_IJSA_SD_SF_SF_NSB_INS4_IJiNS7_IiLi128EEEEEELb0EEENSE_IS8_EEEEENS4_IJSI_SJ_SK_SX_SO_SY_EEENS4_IJSM_SN_SO_NSH_IJLi6EEEENSH_IJLi7ELi8EEEENSH_IJLi9EEEEEEENSH_IJLi6ELi7ELi8ELi9EEEElEENS3_INS4_IJSS_SD_SF_SF_S1A_S1B_EEENS4_IJSI_SK_SJ_SX_SO_SY_EEES1H_S1I_lEENS3_INS4_IJSS_SF_SF_NSB_INS4_IJiNS7_IiLi2EEENS7_IiLi64EEEEEELb0EEES1Q_EEENS4_IJSI_SK_SJ_SX_SY_EEENS4_IJSM_SX_SY_NSH_IJLi5ELi6ELi7EEEENSH_IJLi8ELi9ELi10EEEEEEENSH_IJLi5ELi6ELi7ELi8ELi9ELi10EEEElEENS_31BlockToCTileMap_M00_N00_M01_N01ILi128ELi128ES10_Lb0EEELb1ELb1EEEvPKT0_S22_PT1_T2_T3_T4_T5_.uses_flat_scratch, 0
	.set _ZN2ck19kernel_gemm_dl_v1r3INS_28GridwiseGemmDl_km_kn_mn_v1r3ILi256EfffLNS_25InMemoryDataOperationEnumE0ENS_16TensorDescriptorINS_5TupleIJNS_5EmbedINS4_IJiiEEENS4_IJNS_17integral_constantIiLi1EEEiEEELb0EEENS_7UnMergeINS4_IJiS8_EEELb0EEENS_11PassThroughIiEEEEENS4_IJNS_8SequenceIJLi0EEEENSH_IJLi2EEEENSH_IJLi1EEEEEEENS4_IJNSH_IJLi1ELi2EEEENSH_IJLi3ELi4EEEENSH_IJLi5EEEEEEENSH_IJLi3ELi5ELi4EEEElEENS3_INS4_IJNS5_IS6_SC_Lb0EEESD_SF_EEENS4_IJSI_SK_SJ_EEESP_SQ_lEENS3_INS4_IJSS_SF_SF_EEESU_NS4_IJSM_NSH_IJLi3EEEENSH_IJLi4EEEEEEESN_lEELi128ELi128ELi16ELi1ELi4ELi4ELi1ENSH_IJLi8ELi2EEEES11_NSH_IJLi2ELi1ELi4ELi1EEEENSH_IJLi8ELi1ELi32ELi1EEEENSH_IJLi0ELi3ELi1ELi2EEEES14_NSH_IJLi1ELi1ELi4ELi1EEEES14_S15_S12_S13_S14_S14_S15_S14_S15_NSH_IJLi0ELi1ELi2ELi3ELi4ELi5EEEELi5ELi4EEEffNS3_INS4_IJSA_SD_SF_SF_NSB_INS4_IJiNS7_IiLi128EEEEEELb0EEENSE_IS8_EEEEENS4_IJSI_SJ_SK_SX_SO_SY_EEENS4_IJSM_SN_SO_NSH_IJLi6EEEENSH_IJLi7ELi8EEEENSH_IJLi9EEEEEEENSH_IJLi6ELi7ELi8ELi9EEEElEENS3_INS4_IJSS_SD_SF_SF_S1A_S1B_EEENS4_IJSI_SK_SJ_SX_SO_SY_EEES1H_S1I_lEENS3_INS4_IJSS_SF_SF_NSB_INS4_IJiNS7_IiLi2EEENS7_IiLi64EEEEEELb0EEES1Q_EEENS4_IJSI_SK_SJ_SX_SY_EEENS4_IJSM_SX_SY_NSH_IJLi5ELi6ELi7EEEENSH_IJLi8ELi9ELi10EEEEEEENSH_IJLi5ELi6ELi7ELi8ELi9ELi10EEEElEENS_31BlockToCTileMap_M00_N00_M01_N01ILi128ELi128ES10_Lb0EEELb1ELb1EEEvPKT0_S22_PT1_T2_T3_T4_T5_.has_dyn_sized_stack, 0
	.set _ZN2ck19kernel_gemm_dl_v1r3INS_28GridwiseGemmDl_km_kn_mn_v1r3ILi256EfffLNS_25InMemoryDataOperationEnumE0ENS_16TensorDescriptorINS_5TupleIJNS_5EmbedINS4_IJiiEEENS4_IJNS_17integral_constantIiLi1EEEiEEELb0EEENS_7UnMergeINS4_IJiS8_EEELb0EEENS_11PassThroughIiEEEEENS4_IJNS_8SequenceIJLi0EEEENSH_IJLi2EEEENSH_IJLi1EEEEEEENS4_IJNSH_IJLi1ELi2EEEENSH_IJLi3ELi4EEEENSH_IJLi5EEEEEEENSH_IJLi3ELi5ELi4EEEElEENS3_INS4_IJNS5_IS6_SC_Lb0EEESD_SF_EEENS4_IJSI_SK_SJ_EEESP_SQ_lEENS3_INS4_IJSS_SF_SF_EEESU_NS4_IJSM_NSH_IJLi3EEEENSH_IJLi4EEEEEEESN_lEELi128ELi128ELi16ELi1ELi4ELi4ELi1ENSH_IJLi8ELi2EEEES11_NSH_IJLi2ELi1ELi4ELi1EEEENSH_IJLi8ELi1ELi32ELi1EEEENSH_IJLi0ELi3ELi1ELi2EEEES14_NSH_IJLi1ELi1ELi4ELi1EEEES14_S15_S12_S13_S14_S14_S15_S14_S15_NSH_IJLi0ELi1ELi2ELi3ELi4ELi5EEEELi5ELi4EEEffNS3_INS4_IJSA_SD_SF_SF_NSB_INS4_IJiNS7_IiLi128EEEEEELb0EEENSE_IS8_EEEEENS4_IJSI_SJ_SK_SX_SO_SY_EEENS4_IJSM_SN_SO_NSH_IJLi6EEEENSH_IJLi7ELi8EEEENSH_IJLi9EEEEEEENSH_IJLi6ELi7ELi8ELi9EEEElEENS3_INS4_IJSS_SD_SF_SF_S1A_S1B_EEENS4_IJSI_SK_SJ_SX_SO_SY_EEES1H_S1I_lEENS3_INS4_IJSS_SF_SF_NSB_INS4_IJiNS7_IiLi2EEENS7_IiLi64EEEEEELb0EEES1Q_EEENS4_IJSI_SK_SJ_SX_SY_EEENS4_IJSM_SX_SY_NSH_IJLi5ELi6ELi7EEEENSH_IJLi8ELi9ELi10EEEEEEENSH_IJLi5ELi6ELi7ELi8ELi9ELi10EEEElEENS_31BlockToCTileMap_M00_N00_M01_N01ILi128ELi128ES10_Lb0EEELb1ELb1EEEvPKT0_S22_PT1_T2_T3_T4_T5_.has_recursion, 0
	.set _ZN2ck19kernel_gemm_dl_v1r3INS_28GridwiseGemmDl_km_kn_mn_v1r3ILi256EfffLNS_25InMemoryDataOperationEnumE0ENS_16TensorDescriptorINS_5TupleIJNS_5EmbedINS4_IJiiEEENS4_IJNS_17integral_constantIiLi1EEEiEEELb0EEENS_7UnMergeINS4_IJiS8_EEELb0EEENS_11PassThroughIiEEEEENS4_IJNS_8SequenceIJLi0EEEENSH_IJLi2EEEENSH_IJLi1EEEEEEENS4_IJNSH_IJLi1ELi2EEEENSH_IJLi3ELi4EEEENSH_IJLi5EEEEEEENSH_IJLi3ELi5ELi4EEEElEENS3_INS4_IJNS5_IS6_SC_Lb0EEESD_SF_EEENS4_IJSI_SK_SJ_EEESP_SQ_lEENS3_INS4_IJSS_SF_SF_EEESU_NS4_IJSM_NSH_IJLi3EEEENSH_IJLi4EEEEEEESN_lEELi128ELi128ELi16ELi1ELi4ELi4ELi1ENSH_IJLi8ELi2EEEES11_NSH_IJLi2ELi1ELi4ELi1EEEENSH_IJLi8ELi1ELi32ELi1EEEENSH_IJLi0ELi3ELi1ELi2EEEES14_NSH_IJLi1ELi1ELi4ELi1EEEES14_S15_S12_S13_S14_S14_S15_S14_S15_NSH_IJLi0ELi1ELi2ELi3ELi4ELi5EEEELi5ELi4EEEffNS3_INS4_IJSA_SD_SF_SF_NSB_INS4_IJiNS7_IiLi128EEEEEELb0EEENSE_IS8_EEEEENS4_IJSI_SJ_SK_SX_SO_SY_EEENS4_IJSM_SN_SO_NSH_IJLi6EEEENSH_IJLi7ELi8EEEENSH_IJLi9EEEEEEENSH_IJLi6ELi7ELi8ELi9EEEElEENS3_INS4_IJSS_SD_SF_SF_S1A_S1B_EEENS4_IJSI_SK_SJ_SX_SO_SY_EEES1H_S1I_lEENS3_INS4_IJSS_SF_SF_NSB_INS4_IJiNS7_IiLi2EEENS7_IiLi64EEEEEELb0EEES1Q_EEENS4_IJSI_SK_SJ_SX_SY_EEENS4_IJSM_SX_SY_NSH_IJLi5ELi6ELi7EEEENSH_IJLi8ELi9ELi10EEEEEEENSH_IJLi5ELi6ELi7ELi8ELi9ELi10EEEElEENS_31BlockToCTileMap_M00_N00_M01_N01ILi128ELi128ES10_Lb0EEELb1ELb1EEEvPKT0_S22_PT1_T2_T3_T4_T5_.has_indirect_call, 0
	.section	.AMDGPU.csdata,"",@progbits
; Kernel info:
; codeLenInByte = 37232
; TotalNumSgprs: 35
; NumVgprs: 117
; ScratchSize: 0
; MemoryBound: 0
; FloatMode: 240
; IeeeMode: 1
; LDSByteSize: 32768 bytes/workgroup (compile time only)
; SGPRBlocks: 12
; VGPRBlocks: 29
; NumSGPRsForWavesPerEU: 102
; NumVGPRsForWavesPerEU: 117
; Occupancy: 2
; WaveLimiterHint : 0
; COMPUTE_PGM_RSRC2:SCRATCH_EN: 0
; COMPUTE_PGM_RSRC2:USER_SGPR: 6
; COMPUTE_PGM_RSRC2:TRAP_HANDLER: 0
; COMPUTE_PGM_RSRC2:TGID_X_EN: 1
; COMPUTE_PGM_RSRC2:TGID_Y_EN: 0
; COMPUTE_PGM_RSRC2:TGID_Z_EN: 0
; COMPUTE_PGM_RSRC2:TIDIG_COMP_CNT: 0
	.section	.text._ZN2ck19kernel_gemm_dl_v1r3INS_28GridwiseGemmDl_km_kn_mn_v1r3ILi256EfffLNS_25InMemoryDataOperationEnumE0ENS_16TensorDescriptorINS_5TupleIJNS_5EmbedINS4_IJiiEEENS4_IJNS_17integral_constantIiLi1EEEiEEELb0EEENS_7UnMergeINS4_IJiS8_EEELb0EEENS_11PassThroughIiEEEEENS4_IJNS_8SequenceIJLi0EEEENSH_IJLi2EEEENSH_IJLi1EEEEEEENS4_IJNSH_IJLi1ELi2EEEENSH_IJLi3ELi4EEEENSH_IJLi5EEEEEEENSH_IJLi3ELi5ELi4EEEElEENS3_INS4_IJNS5_IS6_SC_Lb0EEESD_SF_EEENS4_IJSI_SK_SJ_EEESP_SQ_lEENS3_INS4_IJSS_SF_SF_EEESU_NS4_IJSM_NSH_IJLi3EEEENSH_IJLi4EEEEEEESN_lEELi128ELi128ELi16ELi1ELi4ELi4ELi1ENSH_IJLi8ELi2EEEES11_NSH_IJLi2ELi1ELi4ELi1EEEENSH_IJLi8ELi1ELi32ELi1EEEENSH_IJLi0ELi3ELi1ELi2EEEES14_NSH_IJLi1ELi1ELi4ELi1EEEES14_S15_S12_S13_S14_S14_S15_S14_S15_NSH_IJLi0ELi1ELi2ELi3ELi4ELi5EEEELi5ELi4EEEffNS3_INS4_IJSA_SD_SF_SF_NSB_INS4_IJiNS7_IiLi128EEEEEELb0EEENSE_IS8_EEEEENS4_IJSI_SJ_SK_SX_SO_SY_EEENS4_IJSM_SN_SO_NSH_IJLi6EEEENSH_IJLi7ELi8EEEENSH_IJLi9EEEEEEENSH_IJLi6ELi7ELi8ELi9EEEElEENS3_INS4_IJSS_SD_SF_SF_S1A_S1B_EEENS4_IJSI_SK_SJ_SX_SO_SY_EEES1H_S1I_lEENS3_INS4_IJSS_SF_SF_NSB_INS4_IJiNS7_IiLi2EEENS7_IiLi64EEEEEELb0EEES1Q_EEENS4_IJSI_SK_SJ_SX_SY_EEENS4_IJSM_SX_SY_NSH_IJLi5ELi6ELi7EEEENSH_IJLi8ELi9ELi10EEEEEEENSH_IJLi5ELi6ELi7ELi8ELi9ELi10EEEElEENS_31BlockToCTileMap_M00_N00_M01_N01ILi128ELi128ES10_Lb0EEELb1ELb0EEEvPKT0_S22_PT1_T2_T3_T4_T5_,"axG",@progbits,_ZN2ck19kernel_gemm_dl_v1r3INS_28GridwiseGemmDl_km_kn_mn_v1r3ILi256EfffLNS_25InMemoryDataOperationEnumE0ENS_16TensorDescriptorINS_5TupleIJNS_5EmbedINS4_IJiiEEENS4_IJNS_17integral_constantIiLi1EEEiEEELb0EEENS_7UnMergeINS4_IJiS8_EEELb0EEENS_11PassThroughIiEEEEENS4_IJNS_8SequenceIJLi0EEEENSH_IJLi2EEEENSH_IJLi1EEEEEEENS4_IJNSH_IJLi1ELi2EEEENSH_IJLi3ELi4EEEENSH_IJLi5EEEEEEENSH_IJLi3ELi5ELi4EEEElEENS3_INS4_IJNS5_IS6_SC_Lb0EEESD_SF_EEENS4_IJSI_SK_SJ_EEESP_SQ_lEENS3_INS4_IJSS_SF_SF_EEESU_NS4_IJSM_NSH_IJLi3EEEENSH_IJLi4EEEEEEESN_lEELi128ELi128ELi16ELi1ELi4ELi4ELi1ENSH_IJLi8ELi2EEEES11_NSH_IJLi2ELi1ELi4ELi1EEEENSH_IJLi8ELi1ELi32ELi1EEEENSH_IJLi0ELi3ELi1ELi2EEEES14_NSH_IJLi1ELi1ELi4ELi1EEEES14_S15_S12_S13_S14_S14_S15_S14_S15_NSH_IJLi0ELi1ELi2ELi3ELi4ELi5EEEELi5ELi4EEEffNS3_INS4_IJSA_SD_SF_SF_NSB_INS4_IJiNS7_IiLi128EEEEEELb0EEENSE_IS8_EEEEENS4_IJSI_SJ_SK_SX_SO_SY_EEENS4_IJSM_SN_SO_NSH_IJLi6EEEENSH_IJLi7ELi8EEEENSH_IJLi9EEEEEEENSH_IJLi6ELi7ELi8ELi9EEEElEENS3_INS4_IJSS_SD_SF_SF_S1A_S1B_EEENS4_IJSI_SK_SJ_SX_SO_SY_EEES1H_S1I_lEENS3_INS4_IJSS_SF_SF_NSB_INS4_IJiNS7_IiLi2EEENS7_IiLi64EEEEEELb0EEES1Q_EEENS4_IJSI_SK_SJ_SX_SY_EEENS4_IJSM_SX_SY_NSH_IJLi5ELi6ELi7EEEENSH_IJLi8ELi9ELi10EEEEEEENSH_IJLi5ELi6ELi7ELi8ELi9ELi10EEEElEENS_31BlockToCTileMap_M00_N00_M01_N01ILi128ELi128ES10_Lb0EEELb1ELb0EEEvPKT0_S22_PT1_T2_T3_T4_T5_,comdat
	.protected	_ZN2ck19kernel_gemm_dl_v1r3INS_28GridwiseGemmDl_km_kn_mn_v1r3ILi256EfffLNS_25InMemoryDataOperationEnumE0ENS_16TensorDescriptorINS_5TupleIJNS_5EmbedINS4_IJiiEEENS4_IJNS_17integral_constantIiLi1EEEiEEELb0EEENS_7UnMergeINS4_IJiS8_EEELb0EEENS_11PassThroughIiEEEEENS4_IJNS_8SequenceIJLi0EEEENSH_IJLi2EEEENSH_IJLi1EEEEEEENS4_IJNSH_IJLi1ELi2EEEENSH_IJLi3ELi4EEEENSH_IJLi5EEEEEEENSH_IJLi3ELi5ELi4EEEElEENS3_INS4_IJNS5_IS6_SC_Lb0EEESD_SF_EEENS4_IJSI_SK_SJ_EEESP_SQ_lEENS3_INS4_IJSS_SF_SF_EEESU_NS4_IJSM_NSH_IJLi3EEEENSH_IJLi4EEEEEEESN_lEELi128ELi128ELi16ELi1ELi4ELi4ELi1ENSH_IJLi8ELi2EEEES11_NSH_IJLi2ELi1ELi4ELi1EEEENSH_IJLi8ELi1ELi32ELi1EEEENSH_IJLi0ELi3ELi1ELi2EEEES14_NSH_IJLi1ELi1ELi4ELi1EEEES14_S15_S12_S13_S14_S14_S15_S14_S15_NSH_IJLi0ELi1ELi2ELi3ELi4ELi5EEEELi5ELi4EEEffNS3_INS4_IJSA_SD_SF_SF_NSB_INS4_IJiNS7_IiLi128EEEEEELb0EEENSE_IS8_EEEEENS4_IJSI_SJ_SK_SX_SO_SY_EEENS4_IJSM_SN_SO_NSH_IJLi6EEEENSH_IJLi7ELi8EEEENSH_IJLi9EEEEEEENSH_IJLi6ELi7ELi8ELi9EEEElEENS3_INS4_IJSS_SD_SF_SF_S1A_S1B_EEENS4_IJSI_SK_SJ_SX_SO_SY_EEES1H_S1I_lEENS3_INS4_IJSS_SF_SF_NSB_INS4_IJiNS7_IiLi2EEENS7_IiLi64EEEEEELb0EEES1Q_EEENS4_IJSI_SK_SJ_SX_SY_EEENS4_IJSM_SX_SY_NSH_IJLi5ELi6ELi7EEEENSH_IJLi8ELi9ELi10EEEEEEENSH_IJLi5ELi6ELi7ELi8ELi9ELi10EEEElEENS_31BlockToCTileMap_M00_N00_M01_N01ILi128ELi128ES10_Lb0EEELb1ELb0EEEvPKT0_S22_PT1_T2_T3_T4_T5_ ; -- Begin function _ZN2ck19kernel_gemm_dl_v1r3INS_28GridwiseGemmDl_km_kn_mn_v1r3ILi256EfffLNS_25InMemoryDataOperationEnumE0ENS_16TensorDescriptorINS_5TupleIJNS_5EmbedINS4_IJiiEEENS4_IJNS_17integral_constantIiLi1EEEiEEELb0EEENS_7UnMergeINS4_IJiS8_EEELb0EEENS_11PassThroughIiEEEEENS4_IJNS_8SequenceIJLi0EEEENSH_IJLi2EEEENSH_IJLi1EEEEEEENS4_IJNSH_IJLi1ELi2EEEENSH_IJLi3ELi4EEEENSH_IJLi5EEEEEEENSH_IJLi3ELi5ELi4EEEElEENS3_INS4_IJNS5_IS6_SC_Lb0EEESD_SF_EEENS4_IJSI_SK_SJ_EEESP_SQ_lEENS3_INS4_IJSS_SF_SF_EEESU_NS4_IJSM_NSH_IJLi3EEEENSH_IJLi4EEEEEEESN_lEELi128ELi128ELi16ELi1ELi4ELi4ELi1ENSH_IJLi8ELi2EEEES11_NSH_IJLi2ELi1ELi4ELi1EEEENSH_IJLi8ELi1ELi32ELi1EEEENSH_IJLi0ELi3ELi1ELi2EEEES14_NSH_IJLi1ELi1ELi4ELi1EEEES14_S15_S12_S13_S14_S14_S15_S14_S15_NSH_IJLi0ELi1ELi2ELi3ELi4ELi5EEEELi5ELi4EEEffNS3_INS4_IJSA_SD_SF_SF_NSB_INS4_IJiNS7_IiLi128EEEEEELb0EEENSE_IS8_EEEEENS4_IJSI_SJ_SK_SX_SO_SY_EEENS4_IJSM_SN_SO_NSH_IJLi6EEEENSH_IJLi7ELi8EEEENSH_IJLi9EEEEEEENSH_IJLi6ELi7ELi8ELi9EEEElEENS3_INS4_IJSS_SD_SF_SF_S1A_S1B_EEENS4_IJSI_SK_SJ_SX_SO_SY_EEES1H_S1I_lEENS3_INS4_IJSS_SF_SF_NSB_INS4_IJiNS7_IiLi2EEENS7_IiLi64EEEEEELb0EEES1Q_EEENS4_IJSI_SK_SJ_SX_SY_EEENS4_IJSM_SX_SY_NSH_IJLi5ELi6ELi7EEEENSH_IJLi8ELi9ELi10EEEEEEENSH_IJLi5ELi6ELi7ELi8ELi9ELi10EEEElEENS_31BlockToCTileMap_M00_N00_M01_N01ILi128ELi128ES10_Lb0EEELb1ELb0EEEvPKT0_S22_PT1_T2_T3_T4_T5_
	.globl	_ZN2ck19kernel_gemm_dl_v1r3INS_28GridwiseGemmDl_km_kn_mn_v1r3ILi256EfffLNS_25InMemoryDataOperationEnumE0ENS_16TensorDescriptorINS_5TupleIJNS_5EmbedINS4_IJiiEEENS4_IJNS_17integral_constantIiLi1EEEiEEELb0EEENS_7UnMergeINS4_IJiS8_EEELb0EEENS_11PassThroughIiEEEEENS4_IJNS_8SequenceIJLi0EEEENSH_IJLi2EEEENSH_IJLi1EEEEEEENS4_IJNSH_IJLi1ELi2EEEENSH_IJLi3ELi4EEEENSH_IJLi5EEEEEEENSH_IJLi3ELi5ELi4EEEElEENS3_INS4_IJNS5_IS6_SC_Lb0EEESD_SF_EEENS4_IJSI_SK_SJ_EEESP_SQ_lEENS3_INS4_IJSS_SF_SF_EEESU_NS4_IJSM_NSH_IJLi3EEEENSH_IJLi4EEEEEEESN_lEELi128ELi128ELi16ELi1ELi4ELi4ELi1ENSH_IJLi8ELi2EEEES11_NSH_IJLi2ELi1ELi4ELi1EEEENSH_IJLi8ELi1ELi32ELi1EEEENSH_IJLi0ELi3ELi1ELi2EEEES14_NSH_IJLi1ELi1ELi4ELi1EEEES14_S15_S12_S13_S14_S14_S15_S14_S15_NSH_IJLi0ELi1ELi2ELi3ELi4ELi5EEEELi5ELi4EEEffNS3_INS4_IJSA_SD_SF_SF_NSB_INS4_IJiNS7_IiLi128EEEEEELb0EEENSE_IS8_EEEEENS4_IJSI_SJ_SK_SX_SO_SY_EEENS4_IJSM_SN_SO_NSH_IJLi6EEEENSH_IJLi7ELi8EEEENSH_IJLi9EEEEEEENSH_IJLi6ELi7ELi8ELi9EEEElEENS3_INS4_IJSS_SD_SF_SF_S1A_S1B_EEENS4_IJSI_SK_SJ_SX_SO_SY_EEES1H_S1I_lEENS3_INS4_IJSS_SF_SF_NSB_INS4_IJiNS7_IiLi2EEENS7_IiLi64EEEEEELb0EEES1Q_EEENS4_IJSI_SK_SJ_SX_SY_EEENS4_IJSM_SX_SY_NSH_IJLi5ELi6ELi7EEEENSH_IJLi8ELi9ELi10EEEEEEENSH_IJLi5ELi6ELi7ELi8ELi9ELi10EEEElEENS_31BlockToCTileMap_M00_N00_M01_N01ILi128ELi128ES10_Lb0EEELb1ELb0EEEvPKT0_S22_PT1_T2_T3_T4_T5_
	.p2align	8
	.type	_ZN2ck19kernel_gemm_dl_v1r3INS_28GridwiseGemmDl_km_kn_mn_v1r3ILi256EfffLNS_25InMemoryDataOperationEnumE0ENS_16TensorDescriptorINS_5TupleIJNS_5EmbedINS4_IJiiEEENS4_IJNS_17integral_constantIiLi1EEEiEEELb0EEENS_7UnMergeINS4_IJiS8_EEELb0EEENS_11PassThroughIiEEEEENS4_IJNS_8SequenceIJLi0EEEENSH_IJLi2EEEENSH_IJLi1EEEEEEENS4_IJNSH_IJLi1ELi2EEEENSH_IJLi3ELi4EEEENSH_IJLi5EEEEEEENSH_IJLi3ELi5ELi4EEEElEENS3_INS4_IJNS5_IS6_SC_Lb0EEESD_SF_EEENS4_IJSI_SK_SJ_EEESP_SQ_lEENS3_INS4_IJSS_SF_SF_EEESU_NS4_IJSM_NSH_IJLi3EEEENSH_IJLi4EEEEEEESN_lEELi128ELi128ELi16ELi1ELi4ELi4ELi1ENSH_IJLi8ELi2EEEES11_NSH_IJLi2ELi1ELi4ELi1EEEENSH_IJLi8ELi1ELi32ELi1EEEENSH_IJLi0ELi3ELi1ELi2EEEES14_NSH_IJLi1ELi1ELi4ELi1EEEES14_S15_S12_S13_S14_S14_S15_S14_S15_NSH_IJLi0ELi1ELi2ELi3ELi4ELi5EEEELi5ELi4EEEffNS3_INS4_IJSA_SD_SF_SF_NSB_INS4_IJiNS7_IiLi128EEEEEELb0EEENSE_IS8_EEEEENS4_IJSI_SJ_SK_SX_SO_SY_EEENS4_IJSM_SN_SO_NSH_IJLi6EEEENSH_IJLi7ELi8EEEENSH_IJLi9EEEEEEENSH_IJLi6ELi7ELi8ELi9EEEElEENS3_INS4_IJSS_SD_SF_SF_S1A_S1B_EEENS4_IJSI_SK_SJ_SX_SO_SY_EEES1H_S1I_lEENS3_INS4_IJSS_SF_SF_NSB_INS4_IJiNS7_IiLi2EEENS7_IiLi64EEEEEELb0EEES1Q_EEENS4_IJSI_SK_SJ_SX_SY_EEENS4_IJSM_SX_SY_NSH_IJLi5ELi6ELi7EEEENSH_IJLi8ELi9ELi10EEEEEEENSH_IJLi5ELi6ELi7ELi8ELi9ELi10EEEElEENS_31BlockToCTileMap_M00_N00_M01_N01ILi128ELi128ES10_Lb0EEELb1ELb0EEEvPKT0_S22_PT1_T2_T3_T4_T5_,@function
_ZN2ck19kernel_gemm_dl_v1r3INS_28GridwiseGemmDl_km_kn_mn_v1r3ILi256EfffLNS_25InMemoryDataOperationEnumE0ENS_16TensorDescriptorINS_5TupleIJNS_5EmbedINS4_IJiiEEENS4_IJNS_17integral_constantIiLi1EEEiEEELb0EEENS_7UnMergeINS4_IJiS8_EEELb0EEENS_11PassThroughIiEEEEENS4_IJNS_8SequenceIJLi0EEEENSH_IJLi2EEEENSH_IJLi1EEEEEEENS4_IJNSH_IJLi1ELi2EEEENSH_IJLi3ELi4EEEENSH_IJLi5EEEEEEENSH_IJLi3ELi5ELi4EEEElEENS3_INS4_IJNS5_IS6_SC_Lb0EEESD_SF_EEENS4_IJSI_SK_SJ_EEESP_SQ_lEENS3_INS4_IJSS_SF_SF_EEESU_NS4_IJSM_NSH_IJLi3EEEENSH_IJLi4EEEEEEESN_lEELi128ELi128ELi16ELi1ELi4ELi4ELi1ENSH_IJLi8ELi2EEEES11_NSH_IJLi2ELi1ELi4ELi1EEEENSH_IJLi8ELi1ELi32ELi1EEEENSH_IJLi0ELi3ELi1ELi2EEEES14_NSH_IJLi1ELi1ELi4ELi1EEEES14_S15_S12_S13_S14_S14_S15_S14_S15_NSH_IJLi0ELi1ELi2ELi3ELi4ELi5EEEELi5ELi4EEEffNS3_INS4_IJSA_SD_SF_SF_NSB_INS4_IJiNS7_IiLi128EEEEEELb0EEENSE_IS8_EEEEENS4_IJSI_SJ_SK_SX_SO_SY_EEENS4_IJSM_SN_SO_NSH_IJLi6EEEENSH_IJLi7ELi8EEEENSH_IJLi9EEEEEEENSH_IJLi6ELi7ELi8ELi9EEEElEENS3_INS4_IJSS_SD_SF_SF_S1A_S1B_EEENS4_IJSI_SK_SJ_SX_SO_SY_EEES1H_S1I_lEENS3_INS4_IJSS_SF_SF_NSB_INS4_IJiNS7_IiLi2EEENS7_IiLi64EEEEEELb0EEES1Q_EEENS4_IJSI_SK_SJ_SX_SY_EEENS4_IJSM_SX_SY_NSH_IJLi5ELi6ELi7EEEENSH_IJLi8ELi9ELi10EEEEEEENSH_IJLi5ELi6ELi7ELi8ELi9ELi10EEEElEENS_31BlockToCTileMap_M00_N00_M01_N01ILi128ELi128ES10_Lb0EEELb1ELb0EEEvPKT0_S22_PT1_T2_T3_T4_T5_: ; @_ZN2ck19kernel_gemm_dl_v1r3INS_28GridwiseGemmDl_km_kn_mn_v1r3ILi256EfffLNS_25InMemoryDataOperationEnumE0ENS_16TensorDescriptorINS_5TupleIJNS_5EmbedINS4_IJiiEEENS4_IJNS_17integral_constantIiLi1EEEiEEELb0EEENS_7UnMergeINS4_IJiS8_EEELb0EEENS_11PassThroughIiEEEEENS4_IJNS_8SequenceIJLi0EEEENSH_IJLi2EEEENSH_IJLi1EEEEEEENS4_IJNSH_IJLi1ELi2EEEENSH_IJLi3ELi4EEEENSH_IJLi5EEEEEEENSH_IJLi3ELi5ELi4EEEElEENS3_INS4_IJNS5_IS6_SC_Lb0EEESD_SF_EEENS4_IJSI_SK_SJ_EEESP_SQ_lEENS3_INS4_IJSS_SF_SF_EEESU_NS4_IJSM_NSH_IJLi3EEEENSH_IJLi4EEEEEEESN_lEELi128ELi128ELi16ELi1ELi4ELi4ELi1ENSH_IJLi8ELi2EEEES11_NSH_IJLi2ELi1ELi4ELi1EEEENSH_IJLi8ELi1ELi32ELi1EEEENSH_IJLi0ELi3ELi1ELi2EEEES14_NSH_IJLi1ELi1ELi4ELi1EEEES14_S15_S12_S13_S14_S14_S15_S14_S15_NSH_IJLi0ELi1ELi2ELi3ELi4ELi5EEEELi5ELi4EEEffNS3_INS4_IJSA_SD_SF_SF_NSB_INS4_IJiNS7_IiLi128EEEEEELb0EEENSE_IS8_EEEEENS4_IJSI_SJ_SK_SX_SO_SY_EEENS4_IJSM_SN_SO_NSH_IJLi6EEEENSH_IJLi7ELi8EEEENSH_IJLi9EEEEEEENSH_IJLi6ELi7ELi8ELi9EEEElEENS3_INS4_IJSS_SD_SF_SF_S1A_S1B_EEENS4_IJSI_SK_SJ_SX_SO_SY_EEES1H_S1I_lEENS3_INS4_IJSS_SF_SF_NSB_INS4_IJiNS7_IiLi2EEENS7_IiLi64EEEEEELb0EEES1Q_EEENS4_IJSI_SK_SJ_SX_SY_EEENS4_IJSM_SX_SY_NSH_IJLi5ELi6ELi7EEEENSH_IJLi8ELi9ELi10EEEEEEENSH_IJLi5ELi6ELi7ELi8ELi9ELi10EEEElEENS_31BlockToCTileMap_M00_N00_M01_N01ILi128ELi128ES10_Lb0EEELb1ELb0EEEvPKT0_S22_PT1_T2_T3_T4_T5_
; %bb.0:
	s_load_dwordx4 s[12:15], s[4:5], 0x0
	s_load_dwordx2 s[0:1], s[4:5], 0x10
	s_load_dword s7, s[4:5], 0xfc
	s_load_dwordx4 s[8:11], s[4:5], 0x108
	s_load_dwordx4 s[20:23], s[4:5], 0x11c
	;; [unrolled: 1-line block ×3, first 2 shown]
	s_load_dword s19, s[4:5], 0x24
	s_load_dword s18, s[4:5], 0x38
	;; [unrolled: 1-line block ×6, first 2 shown]
	s_load_dwordx2 s[2:3], s[4:5], 0xd0
	s_waitcnt lgkmcnt(0)
	s_load_dword s3, s[4:5], 0xec
                                        ; kill: killed $sgpr4_sgpr5
	s_mul_hi_u32 s4, s23, s6
	s_add_i32 s4, s6, s4
	s_lshr_b32 s4, s4, s27
	s_mul_i32 s5, s4, s11
	s_sub_i32 s5, s6, s5
	s_mul_hi_u32 s6, s4, s22
	s_add_i32 s6, s4, s6
	s_lshr_b32 s6, s6, s26
	s_mul_i32 s10, s6, s10
	s_sub_i32 s4, s4, s10
	;; [unrolled: 5-line block ×4, first 2 shown]
	s_waitcnt lgkmcnt(0)
	s_mul_i32 s8, s8, s3
	v_lshrrev_b32_e32 v1, 4, v0
	s_add_i32 s21, s4, s8
	v_and_b32_e32 v17, 14, v1
	v_lshlrev_b32_e32 v18, 2, v0
	v_and_b32_e32 v19, 0x7c, v18
	s_lshl_b32 s3, s21, 7
	v_mul_lo_u32 v3, s29, v17
	s_mul_i32 s6, s6, s7
	v_or_b32_e32 v1, s3, v19
	s_add_i32 s20, s5, s6
	v_mad_u64_u32 v[1:2], s[4:5], s19, v17, v[1:2]
	s_lshl_b32 s17, s20, 7
	v_add3_u32 v2, v3, v19, s17
	s_mov_b32 s7, 0x20000
	s_lshl_b32 s10, s30, 2
	s_and_b32 s9, s15, 0xffff
	s_mov_b32 s8, s14
	s_mov_b32 s11, s7
	v_lshlrev_b32_e32 v22, 2, v2
	s_lshl_b32 s6, s28, 2
	s_and_b32 s5, s13, 0xffff
	s_mov_b32 s4, s12
	v_lshlrev_b32_e32 v20, 2, v1
	v_add_lshl_u32 v21, v1, s19, 2
	v_add_lshl_u32 v23, v2, s29, 2
	buffer_load_dwordx4 v[1:4], v22, s[8:11], 0 offen
	buffer_load_dwordx4 v[5:8], v23, s[8:11], 0 offen
	;; [unrolled: 1-line block ×4, first 2 shown]
	v_lshrrev_b32_e32 v20, 5, v0
	v_lshlrev_b32_e32 v21, 1, v0
	v_and_b32_e32 v0, 31, v0
	v_lshlrev_b32_e32 v22, 6, v20
	v_and_b32_e32 v23, 0x1f8, v21
	v_lshlrev_b32_e32 v20, 3, v20
	v_lshlrev_b32_e32 v80, 4, v0
	v_sub_u32_e32 v0, v23, v22
	v_and_or_b32 v84, v21, 4, v20
	v_or_b32_e32 v20, 33, v17
	v_and_or_b32 v85, v18, 4, v0
	v_mul_lo_u32 v0, s29, v20
	v_lshlrev_b32_e32 v19, 2, v19
	v_or_b32_e32 v21, 32, v17
	v_or_b32_e32 v22, 17, v17
	;; [unrolled: 1-line block ×3, first 2 shown]
	v_lshl_or_b32 v81, v17, 9, v19
	v_mul_lo_u32 v17, s29, v21
	v_mul_lo_u32 v18, s29, v22
	;; [unrolled: 1-line block ×3, first 2 shown]
	s_lshl_b32 s4, s20, 9
	v_mul_lo_u32 v20, s19, v20
	v_mul_lo_u32 v21, s19, v21
	v_lshl_add_u32 v82, v0, 2, s4
	v_mul_lo_u32 v0, s19, v22
	v_lshl_add_u32 v83, v17, 2, s4
	v_lshl_add_u32 v88, v18, 2, s4
	v_lshl_add_u32 v89, v19, 2, s4
	s_lshl_b32 s4, s21, 9
	s_mov_b32 s13, 0
	v_lshlrev_b32_e32 v86, 2, v84
	v_lshlrev_b32_e32 v87, 2, v85
	s_sub_i32 s15, s18, 32
	s_lshl_b32 s18, s29, 7
	v_lshl_add_u32 v90, v20, 2, s4
	v_lshl_add_u32 v91, v21, 2, s4
	;; [unrolled: 1-line block ×3, first 2 shown]
	v_mov_b32_e32 v0, 0
	v_mov_b32_e32 v17, 0
	;; [unrolled: 1-line block ×19, first 2 shown]
	s_waitcnt vmcnt(3)
	ds_write_b128 v81, v[1:4] offset:16384
	s_waitcnt vmcnt(2)
	ds_write_b128 v81, v[5:8] offset:16896
	s_waitcnt vmcnt(1)
	ds_write_b128 v81, v[9:12]
	s_waitcnt vmcnt(0)
	ds_write_b128 v81, v[13:16] offset:512
	v_mul_lo_u32 v1, s19, v23
	s_lshl_b32 s19, s19, 7
	v_mov_b32_e32 v2, 0
	v_mov_b32_e32 v3, 0
	v_lshl_add_u32 v93, v1, 2, s4
	s_mov_b32 s4, s12
	v_mov_b32_e32 v1, 0
	v_mov_b32_e32 v16, 0
	;; [unrolled: 1-line block ×43, first 2 shown]
.LBB2_1:                                ; =>This Inner Loop Header: Depth=1
	v_add_u32_e32 v64, v80, v93
	v_add_u32_e32 v68, v80, v92
	;; [unrolled: 1-line block ×4, first 2 shown]
	buffer_load_dwordx4 v[64:67], v64, s[4:7], 0 offen
	s_nop 0
	buffer_load_dwordx4 v[68:71], v68, s[4:7], 0 offen
	s_nop 0
	;; [unrolled: 2-line block ×3, first 2 shown]
	buffer_load_dwordx4 v[76:79], v76, s[8:11], 0 offen
	s_waitcnt vmcnt(0) lgkmcnt(0)
	s_barrier
	ds_read_b128 v[98:101], v86
	ds_read_b128 v[102:105], v87 offset:16384
	ds_read_b128 v[106:109], v87 offset:16640
	;; [unrolled: 1-line block ×3, first 2 shown]
	s_waitcnt lgkmcnt(2)
	;;#ASMSTART
	
             v_fmac_f32 v0, v98, v102 
             
	;;#ASMEND
	;;#ASMSTART
	
             v_fmac_f32 v1, v98, v103 
             
	;;#ASMEND
	;; [unrolled: 5-line block ×16, first 2 shown]
	s_waitcnt lgkmcnt(1)
	;;#ASMSTART
	
             v_fmac_f32 v16, v98, v106 
             
	;;#ASMEND
	;;#ASMSTART
	
             v_fmac_f32 v17, v98, v107 
             
	;;#ASMEND
	;; [unrolled: 5-line block ×16, first 2 shown]
	ds_read_b128 v[98:101], v86 offset:512
	s_waitcnt lgkmcnt(1)
	;;#ASMSTART
	
             v_fmac_f32 v4, v110, v102 
             
	;;#ASMEND
	;;#ASMSTART
	
             v_fmac_f32 v5, v110, v103 
             
	;;#ASMEND
	;; [unrolled: 5-line block ×16, first 2 shown]
	ds_read_b128 v[102:105], v87 offset:16896
	;;#ASMSTART
	
             v_fmac_f32 v8, v110, v106 
             
	;;#ASMEND
	;;#ASMSTART
	
             v_fmac_f32 v9, v110, v107 
             
	;;#ASMEND
	;; [unrolled: 5-line block ×16, first 2 shown]
	ds_read_b128 v[106:109], v87 offset:17152
	ds_read_b128 v[110:113], v86 offset:768
	s_waitcnt lgkmcnt(2)
	;;#ASMSTART
	
             v_fmac_f32 v0, v98, v102 
             
	;;#ASMEND
	;;#ASMSTART
	
             v_fmac_f32 v1, v98, v103 
             
	;;#ASMEND
	;;#ASMSTART
	
             v_fmac_f32 v2, v98, v104 
             
	;;#ASMEND
	;;#ASMSTART
	
             v_fmac_f32 v3, v98, v105 
             
	;;#ASMEND
	;;#ASMSTART
	
             v_fmac_f32 v12, v99, v102 
             
	;;#ASMEND
	;;#ASMSTART
	
             v_fmac_f32 v13, v99, v103 
             
	;;#ASMEND
	;;#ASMSTART
	
             v_fmac_f32 v14, v99, v104 
             
	;;#ASMEND
	;;#ASMSTART
	
             v_fmac_f32 v15, v99, v105 
             
	;;#ASMEND
	;;#ASMSTART
	
             v_fmac_f32 v24, v100, v102 
             
	;;#ASMEND
	;;#ASMSTART
	
             v_fmac_f32 v25, v100, v103 
             
	;;#ASMEND
	;;#ASMSTART
	
             v_fmac_f32 v26, v100, v104 
             
	;;#ASMEND
	;;#ASMSTART
	
             v_fmac_f32 v27, v100, v105 
             
	;;#ASMEND
	;;#ASMSTART
	
             v_fmac_f32 v20, v101, v102 
             
	;;#ASMEND
	;;#ASMSTART
	
             v_fmac_f32 v21, v101, v103 
             
	;;#ASMEND
	;;#ASMSTART
	
             v_fmac_f32 v22, v101, v104 
             
	;;#ASMEND
	;;#ASMSTART
	
             v_fmac_f32 v23, v101, v105 
             
	;;#ASMEND
	s_waitcnt lgkmcnt(1)
	;;#ASMSTART
	
             v_fmac_f32 v16, v98, v106 
             
	;;#ASMEND
	;;#ASMSTART
	
             v_fmac_f32 v17, v98, v107 
             
	;;#ASMEND
	;; [unrolled: 5-line block ×16, first 2 shown]
	ds_read_b128 v[98:101], v86 offset:1024
	s_waitcnt lgkmcnt(1)
	;;#ASMSTART
	
             v_fmac_f32 v4, v110, v102 
             
	;;#ASMEND
	;;#ASMSTART
	
             v_fmac_f32 v5, v110, v103 
             
	;;#ASMEND
	;; [unrolled: 5-line block ×16, first 2 shown]
	ds_read_b128 v[102:105], v87 offset:17408
	;;#ASMSTART
	
             v_fmac_f32 v8, v110, v106 
             
	;;#ASMEND
	;;#ASMSTART
	
             v_fmac_f32 v9, v110, v107 
             
	;;#ASMEND
	;; [unrolled: 5-line block ×16, first 2 shown]
	ds_read_b128 v[106:109], v87 offset:17664
	ds_read_b128 v[110:113], v86 offset:1280
	s_waitcnt lgkmcnt(2)
	;;#ASMSTART
	
             v_fmac_f32 v0, v98, v102 
             
	;;#ASMEND
	;;#ASMSTART
	
             v_fmac_f32 v1, v98, v103 
             
	;;#ASMEND
	;; [unrolled: 5-line block ×16, first 2 shown]
	s_waitcnt lgkmcnt(1)
	;;#ASMSTART
	
             v_fmac_f32 v16, v98, v106 
             
	;;#ASMEND
	;;#ASMSTART
	
             v_fmac_f32 v17, v98, v107 
             
	;;#ASMEND
	;; [unrolled: 5-line block ×16, first 2 shown]
	ds_read_b128 v[98:101], v86 offset:1536
	s_waitcnt lgkmcnt(1)
	;;#ASMSTART
	
             v_fmac_f32 v4, v110, v102 
             
	;;#ASMEND
	;;#ASMSTART
	
             v_fmac_f32 v5, v110, v103 
             
	;;#ASMEND
	;; [unrolled: 5-line block ×16, first 2 shown]
	ds_read_b128 v[102:105], v87 offset:17920
	;;#ASMSTART
	
             v_fmac_f32 v8, v110, v106 
             
	;;#ASMEND
	;;#ASMSTART
	
             v_fmac_f32 v9, v110, v107 
             
	;;#ASMEND
	;; [unrolled: 5-line block ×16, first 2 shown]
	ds_read_b128 v[106:109], v87 offset:18176
	ds_read_b128 v[110:113], v86 offset:1792
	s_waitcnt lgkmcnt(2)
	;;#ASMSTART
	
             v_fmac_f32 v0, v98, v102 
             
	;;#ASMEND
	;;#ASMSTART
	
             v_fmac_f32 v1, v98, v103 
             
	;;#ASMEND
	;; [unrolled: 5-line block ×16, first 2 shown]
	s_waitcnt lgkmcnt(1)
	;;#ASMSTART
	
             v_fmac_f32 v16, v98, v106 
             
	;;#ASMEND
	;;#ASMSTART
	
             v_fmac_f32 v17, v98, v107 
             
	;;#ASMEND
	;; [unrolled: 5-line block ×16, first 2 shown]
	ds_read_b128 v[98:101], v86 offset:2048
	s_waitcnt lgkmcnt(1)
	;;#ASMSTART
	
             v_fmac_f32 v4, v110, v102 
             
	;;#ASMEND
	;;#ASMSTART
	
             v_fmac_f32 v5, v110, v103 
             
	;;#ASMEND
	;;#ASMSTART
	
             v_fmac_f32 v6, v110, v104 
             
	;;#ASMEND
	;;#ASMSTART
	
             v_fmac_f32 v7, v110, v105 
             
	;;#ASMEND
	;;#ASMSTART
	
             v_fmac_f32 v28, v111, v102 
             
	;;#ASMEND
	;;#ASMSTART
	
             v_fmac_f32 v29, v111, v103 
             
	;;#ASMEND
	;;#ASMSTART
	
             v_fmac_f32 v30, v111, v104 
             
	;;#ASMEND
	;;#ASMSTART
	
             v_fmac_f32 v31, v111, v105 
             
	;;#ASMEND
	;;#ASMSTART
	
             v_fmac_f32 v48, v112, v102 
             
	;;#ASMEND
	;;#ASMSTART
	
             v_fmac_f32 v49, v112, v103 
             
	;;#ASMEND
	;;#ASMSTART
	
             v_fmac_f32 v50, v112, v104 
             
	;;#ASMEND
	;;#ASMSTART
	
             v_fmac_f32 v51, v112, v105 
             
	;;#ASMEND
	;;#ASMSTART
	
             v_fmac_f32 v56, v113, v102 
             
	;;#ASMEND
	;;#ASMSTART
	
             v_fmac_f32 v57, v113, v103 
             
	;;#ASMEND
	;;#ASMSTART
	
             v_fmac_f32 v58, v113, v104 
             
	;;#ASMEND
	;;#ASMSTART
	
             v_fmac_f32 v59, v113, v105 
             
	;;#ASMEND
	ds_read_b128 v[102:105], v87 offset:18432
	;;#ASMSTART
	
             v_fmac_f32 v8, v110, v106 
             
	;;#ASMEND
	;;#ASMSTART
	
             v_fmac_f32 v9, v110, v107 
             
	;;#ASMEND
	;; [unrolled: 5-line block ×16, first 2 shown]
	ds_read_b128 v[106:109], v87 offset:18688
	ds_read_b128 v[110:113], v86 offset:2304
	s_waitcnt lgkmcnt(2)
	;;#ASMSTART
	
             v_fmac_f32 v0, v98, v102 
             
	;;#ASMEND
	;;#ASMSTART
	
             v_fmac_f32 v1, v98, v103 
             
	;;#ASMEND
	;; [unrolled: 5-line block ×16, first 2 shown]
	s_waitcnt lgkmcnt(1)
	;;#ASMSTART
	
             v_fmac_f32 v16, v98, v106 
             
	;;#ASMEND
	;;#ASMSTART
	
             v_fmac_f32 v17, v98, v107 
             
	;;#ASMEND
	;; [unrolled: 5-line block ×16, first 2 shown]
	ds_read_b128 v[98:101], v86 offset:2560
	s_waitcnt lgkmcnt(1)
	;;#ASMSTART
	
             v_fmac_f32 v4, v110, v102 
             
	;;#ASMEND
	;;#ASMSTART
	
             v_fmac_f32 v5, v110, v103 
             
	;;#ASMEND
	;; [unrolled: 5-line block ×16, first 2 shown]
	ds_read_b128 v[102:105], v87 offset:18944
	;;#ASMSTART
	
             v_fmac_f32 v8, v110, v106 
             
	;;#ASMEND
	;;#ASMSTART
	
             v_fmac_f32 v9, v110, v107 
             
	;;#ASMEND
	;; [unrolled: 5-line block ×16, first 2 shown]
	ds_read_b128 v[106:109], v87 offset:19200
	ds_read_b128 v[110:113], v86 offset:2816
	s_waitcnt lgkmcnt(2)
	;;#ASMSTART
	
             v_fmac_f32 v0, v98, v102 
             
	;;#ASMEND
	;;#ASMSTART
	
             v_fmac_f32 v1, v98, v103 
             
	;;#ASMEND
	;; [unrolled: 5-line block ×16, first 2 shown]
	s_waitcnt lgkmcnt(1)
	;;#ASMSTART
	
             v_fmac_f32 v16, v98, v106 
             
	;;#ASMEND
	;;#ASMSTART
	
             v_fmac_f32 v17, v98, v107 
             
	;;#ASMEND
	;; [unrolled: 5-line block ×16, first 2 shown]
	ds_read_b128 v[98:101], v86 offset:3072
	s_waitcnt lgkmcnt(1)
	;;#ASMSTART
	
             v_fmac_f32 v4, v110, v102 
             
	;;#ASMEND
	;;#ASMSTART
	
             v_fmac_f32 v5, v110, v103 
             
	;;#ASMEND
	;; [unrolled: 5-line block ×16, first 2 shown]
	ds_read_b128 v[102:105], v87 offset:19456
	;;#ASMSTART
	
             v_fmac_f32 v8, v110, v106 
             
	;;#ASMEND
	;;#ASMSTART
	
             v_fmac_f32 v9, v110, v107 
             
	;;#ASMEND
	;; [unrolled: 5-line block ×16, first 2 shown]
	ds_read_b128 v[106:109], v87 offset:19712
	ds_read_b128 v[110:113], v86 offset:3328
	s_waitcnt lgkmcnt(2)
	;;#ASMSTART
	
             v_fmac_f32 v0, v98, v102 
             
	;;#ASMEND
	;;#ASMSTART
	
             v_fmac_f32 v1, v98, v103 
             
	;;#ASMEND
	;; [unrolled: 5-line block ×16, first 2 shown]
	s_waitcnt lgkmcnt(1)
	;;#ASMSTART
	
             v_fmac_f32 v16, v98, v106 
             
	;;#ASMEND
	;;#ASMSTART
	
             v_fmac_f32 v17, v98, v107 
             
	;;#ASMEND
	;; [unrolled: 5-line block ×16, first 2 shown]
	ds_read_b128 v[98:101], v86 offset:3584
	s_waitcnt lgkmcnt(1)
	;;#ASMSTART
	
             v_fmac_f32 v4, v110, v102 
             
	;;#ASMEND
	;;#ASMSTART
	
             v_fmac_f32 v5, v110, v103 
             
	;;#ASMEND
	;; [unrolled: 5-line block ×16, first 2 shown]
	ds_read_b128 v[102:105], v87 offset:19968
	;;#ASMSTART
	
             v_fmac_f32 v8, v110, v106 
             
	;;#ASMEND
	;;#ASMSTART
	
             v_fmac_f32 v9, v110, v107 
             
	;;#ASMEND
	;; [unrolled: 5-line block ×16, first 2 shown]
	ds_read_b128 v[106:109], v87 offset:20224
	ds_read_b128 v[110:113], v86 offset:3840
	s_waitcnt lgkmcnt(2)
	;;#ASMSTART
	
             v_fmac_f32 v0, v98, v102 
             
	;;#ASMEND
	;;#ASMSTART
	
             v_fmac_f32 v1, v98, v103 
             
	;;#ASMEND
	;; [unrolled: 5-line block ×16, first 2 shown]
	s_waitcnt lgkmcnt(1)
	;;#ASMSTART
	
             v_fmac_f32 v16, v98, v106 
             
	;;#ASMEND
	;;#ASMSTART
	
             v_fmac_f32 v17, v98, v107 
             
	;;#ASMEND
	;; [unrolled: 5-line block ×16, first 2 shown]
	ds_read_b128 v[98:101], v86 offset:4096
	s_waitcnt lgkmcnt(1)
	;;#ASMSTART
	
             v_fmac_f32 v4, v110, v102 
             
	;;#ASMEND
	;;#ASMSTART
	
             v_fmac_f32 v5, v110, v103 
             
	;;#ASMEND
	;; [unrolled: 5-line block ×16, first 2 shown]
	ds_read_b128 v[102:105], v87 offset:20480
	;;#ASMSTART
	
             v_fmac_f32 v8, v110, v106 
             
	;;#ASMEND
	;;#ASMSTART
	
             v_fmac_f32 v9, v110, v107 
             
	;;#ASMEND
	;; [unrolled: 5-line block ×16, first 2 shown]
	ds_read_b128 v[106:109], v87 offset:20736
	ds_read_b128 v[110:113], v86 offset:4352
	s_waitcnt lgkmcnt(2)
	;;#ASMSTART
	
             v_fmac_f32 v0, v98, v102 
             
	;;#ASMEND
	;;#ASMSTART
	
             v_fmac_f32 v1, v98, v103 
             
	;;#ASMEND
	;;#ASMSTART
	
             v_fmac_f32 v2, v98, v104 
             
	;;#ASMEND
	;;#ASMSTART
	
             v_fmac_f32 v3, v98, v105 
             
	;;#ASMEND
	;;#ASMSTART
	
             v_fmac_f32 v12, v99, v102 
             
	;;#ASMEND
	;;#ASMSTART
	
             v_fmac_f32 v13, v99, v103 
             
	;;#ASMEND
	;;#ASMSTART
	
             v_fmac_f32 v14, v99, v104 
             
	;;#ASMEND
	;;#ASMSTART
	
             v_fmac_f32 v15, v99, v105 
             
	;;#ASMEND
	;;#ASMSTART
	
             v_fmac_f32 v24, v100, v102 
             
	;;#ASMEND
	;;#ASMSTART
	
             v_fmac_f32 v25, v100, v103 
             
	;;#ASMEND
	;;#ASMSTART
	
             v_fmac_f32 v26, v100, v104 
             
	;;#ASMEND
	;;#ASMSTART
	
             v_fmac_f32 v27, v100, v105 
             
	;;#ASMEND
	;;#ASMSTART
	
             v_fmac_f32 v20, v101, v102 
             
	;;#ASMEND
	;;#ASMSTART
	
             v_fmac_f32 v21, v101, v103 
             
	;;#ASMEND
	;;#ASMSTART
	
             v_fmac_f32 v22, v101, v104 
             
	;;#ASMEND
	;;#ASMSTART
	
             v_fmac_f32 v23, v101, v105 
             
	;;#ASMEND
	s_waitcnt lgkmcnt(1)
	;;#ASMSTART
	
             v_fmac_f32 v16, v98, v106 
             
	;;#ASMEND
	;;#ASMSTART
	
             v_fmac_f32 v17, v98, v107 
             
	;;#ASMEND
	;;#ASMSTART
	
             v_fmac_f32 v18, v98, v108 
             
	;;#ASMEND
	;;#ASMSTART
	
             v_fmac_f32 v19, v98, v109 
             
	;;#ASMEND
	;;#ASMSTART
	
             v_fmac_f32 v40, v99, v106 
             
	;;#ASMEND
	;;#ASMSTART
	
             v_fmac_f32 v41, v99, v107 
             
	;;#ASMEND
	;;#ASMSTART
	
             v_fmac_f32 v42, v99, v108 
             
	;;#ASMEND
	;;#ASMSTART
	
             v_fmac_f32 v43, v99, v109 
             
	;;#ASMEND
	;;#ASMSTART
	
             v_fmac_f32 v32, v100, v106 
             
	;;#ASMEND
	;;#ASMSTART
	
             v_fmac_f32 v33, v100, v107 
             
	;;#ASMEND
	;;#ASMSTART
	
             v_fmac_f32 v34, v100, v108 
             
	;;#ASMEND
	;;#ASMSTART
	
             v_fmac_f32 v35, v100, v109 
             
	;;#ASMEND
	;;#ASMSTART
	
             v_fmac_f32 v44, v101, v106 
             
	;;#ASMEND
	;;#ASMSTART
	
             v_fmac_f32 v45, v101, v107 
             
	;;#ASMEND
	;;#ASMSTART
	
             v_fmac_f32 v46, v101, v108 
             
	;;#ASMEND
	;;#ASMSTART
	
             v_fmac_f32 v47, v101, v109 
             
	;;#ASMEND
	ds_read_b128 v[98:101], v86 offset:4608
	s_waitcnt lgkmcnt(1)
	;;#ASMSTART
	
             v_fmac_f32 v4, v110, v102 
             
	;;#ASMEND
	;;#ASMSTART
	
             v_fmac_f32 v5, v110, v103 
             
	;;#ASMEND
	;; [unrolled: 5-line block ×16, first 2 shown]
	ds_read_b128 v[102:105], v87 offset:20992
	;;#ASMSTART
	
             v_fmac_f32 v8, v110, v106 
             
	;;#ASMEND
	;;#ASMSTART
	
             v_fmac_f32 v9, v110, v107 
             
	;;#ASMEND
	;; [unrolled: 5-line block ×16, first 2 shown]
	ds_read_b128 v[106:109], v87 offset:21248
	ds_read_b128 v[110:113], v86 offset:4864
	s_waitcnt lgkmcnt(2)
	;;#ASMSTART
	
             v_fmac_f32 v0, v98, v102 
             
	;;#ASMEND
	;;#ASMSTART
	
             v_fmac_f32 v1, v98, v103 
             
	;;#ASMEND
	;; [unrolled: 5-line block ×16, first 2 shown]
	s_waitcnt lgkmcnt(1)
	;;#ASMSTART
	
             v_fmac_f32 v16, v98, v106 
             
	;;#ASMEND
	;;#ASMSTART
	
             v_fmac_f32 v17, v98, v107 
             
	;;#ASMEND
	;; [unrolled: 5-line block ×16, first 2 shown]
	ds_read_b128 v[98:101], v86 offset:5120
	s_waitcnt lgkmcnt(1)
	;;#ASMSTART
	
             v_fmac_f32 v4, v110, v102 
             
	;;#ASMEND
	;;#ASMSTART
	
             v_fmac_f32 v5, v110, v103 
             
	;;#ASMEND
	;;#ASMSTART
	
             v_fmac_f32 v6, v110, v104 
             
	;;#ASMEND
	;;#ASMSTART
	
             v_fmac_f32 v7, v110, v105 
             
	;;#ASMEND
	;;#ASMSTART
	
             v_fmac_f32 v28, v111, v102 
             
	;;#ASMEND
	;;#ASMSTART
	
             v_fmac_f32 v29, v111, v103 
             
	;;#ASMEND
	;;#ASMSTART
	
             v_fmac_f32 v30, v111, v104 
             
	;;#ASMEND
	;;#ASMSTART
	
             v_fmac_f32 v31, v111, v105 
             
	;;#ASMEND
	;;#ASMSTART
	
             v_fmac_f32 v48, v112, v102 
             
	;;#ASMEND
	;;#ASMSTART
	
             v_fmac_f32 v49, v112, v103 
             
	;;#ASMEND
	;;#ASMSTART
	
             v_fmac_f32 v50, v112, v104 
             
	;;#ASMEND
	;;#ASMSTART
	
             v_fmac_f32 v51, v112, v105 
             
	;;#ASMEND
	;;#ASMSTART
	
             v_fmac_f32 v56, v113, v102 
             
	;;#ASMEND
	;;#ASMSTART
	
             v_fmac_f32 v57, v113, v103 
             
	;;#ASMEND
	;;#ASMSTART
	
             v_fmac_f32 v58, v113, v104 
             
	;;#ASMEND
	;;#ASMSTART
	
             v_fmac_f32 v59, v113, v105 
             
	;;#ASMEND
	ds_read_b128 v[102:105], v87 offset:21504
	;;#ASMSTART
	
             v_fmac_f32 v8, v110, v106 
             
	;;#ASMEND
	;;#ASMSTART
	
             v_fmac_f32 v9, v110, v107 
             
	;;#ASMEND
	;; [unrolled: 5-line block ×16, first 2 shown]
	ds_read_b128 v[106:109], v87 offset:21760
	ds_read_b128 v[110:113], v86 offset:5376
	s_waitcnt lgkmcnt(2)
	;;#ASMSTART
	
             v_fmac_f32 v0, v98, v102 
             
	;;#ASMEND
	;;#ASMSTART
	
             v_fmac_f32 v1, v98, v103 
             
	;;#ASMEND
	;;#ASMSTART
	
             v_fmac_f32 v2, v98, v104 
             
	;;#ASMEND
	;;#ASMSTART
	
             v_fmac_f32 v3, v98, v105 
             
	;;#ASMEND
	;;#ASMSTART
	
             v_fmac_f32 v12, v99, v102 
             
	;;#ASMEND
	;;#ASMSTART
	
             v_fmac_f32 v13, v99, v103 
             
	;;#ASMEND
	;;#ASMSTART
	
             v_fmac_f32 v14, v99, v104 
             
	;;#ASMEND
	;;#ASMSTART
	
             v_fmac_f32 v15, v99, v105 
             
	;;#ASMEND
	;;#ASMSTART
	
             v_fmac_f32 v24, v100, v102 
             
	;;#ASMEND
	;;#ASMSTART
	
             v_fmac_f32 v25, v100, v103 
             
	;;#ASMEND
	;;#ASMSTART
	
             v_fmac_f32 v26, v100, v104 
             
	;;#ASMEND
	;;#ASMSTART
	
             v_fmac_f32 v27, v100, v105 
             
	;;#ASMEND
	;;#ASMSTART
	
             v_fmac_f32 v20, v101, v102 
             
	;;#ASMEND
	;;#ASMSTART
	
             v_fmac_f32 v21, v101, v103 
             
	;;#ASMEND
	;;#ASMSTART
	
             v_fmac_f32 v22, v101, v104 
             
	;;#ASMEND
	;;#ASMSTART
	
             v_fmac_f32 v23, v101, v105 
             
	;;#ASMEND
	s_waitcnt lgkmcnt(1)
	;;#ASMSTART
	
             v_fmac_f32 v16, v98, v106 
             
	;;#ASMEND
	;;#ASMSTART
	
             v_fmac_f32 v17, v98, v107 
             
	;;#ASMEND
	;; [unrolled: 5-line block ×16, first 2 shown]
	ds_read_b128 v[98:101], v86 offset:5632
	s_waitcnt lgkmcnt(1)
	;;#ASMSTART
	
             v_fmac_f32 v4, v110, v102 
             
	;;#ASMEND
	;;#ASMSTART
	
             v_fmac_f32 v5, v110, v103 
             
	;;#ASMEND
	;; [unrolled: 5-line block ×16, first 2 shown]
	ds_read_b128 v[102:105], v87 offset:22016
	;;#ASMSTART
	
             v_fmac_f32 v8, v110, v106 
             
	;;#ASMEND
	;;#ASMSTART
	
             v_fmac_f32 v9, v110, v107 
             
	;;#ASMEND
	;; [unrolled: 5-line block ×16, first 2 shown]
	ds_read_b128 v[106:109], v87 offset:22272
	ds_read_b128 v[110:113], v86 offset:5888
	s_waitcnt lgkmcnt(2)
	;;#ASMSTART
	
             v_fmac_f32 v0, v98, v102 
             
	;;#ASMEND
	;;#ASMSTART
	
             v_fmac_f32 v1, v98, v103 
             
	;;#ASMEND
	;; [unrolled: 5-line block ×16, first 2 shown]
	s_waitcnt lgkmcnt(1)
	;;#ASMSTART
	
             v_fmac_f32 v16, v98, v106 
             
	;;#ASMEND
	;;#ASMSTART
	
             v_fmac_f32 v17, v98, v107 
             
	;;#ASMEND
	;; [unrolled: 5-line block ×16, first 2 shown]
	ds_read_b128 v[98:101], v86 offset:6144
	s_waitcnt lgkmcnt(1)
	;;#ASMSTART
	
             v_fmac_f32 v4, v110, v102 
             
	;;#ASMEND
	;;#ASMSTART
	
             v_fmac_f32 v5, v110, v103 
             
	;;#ASMEND
	;; [unrolled: 5-line block ×16, first 2 shown]
	ds_read_b128 v[102:105], v87 offset:22528
	;;#ASMSTART
	
             v_fmac_f32 v8, v110, v106 
             
	;;#ASMEND
	;;#ASMSTART
	
             v_fmac_f32 v9, v110, v107 
             
	;;#ASMEND
	;; [unrolled: 5-line block ×16, first 2 shown]
	ds_read_b128 v[106:109], v87 offset:22784
	ds_read_b128 v[110:113], v86 offset:6400
	s_waitcnt lgkmcnt(2)
	;;#ASMSTART
	
             v_fmac_f32 v0, v98, v102 
             
	;;#ASMEND
	;;#ASMSTART
	
             v_fmac_f32 v1, v98, v103 
             
	;;#ASMEND
	;; [unrolled: 5-line block ×16, first 2 shown]
	s_waitcnt lgkmcnt(1)
	;;#ASMSTART
	
             v_fmac_f32 v16, v98, v106 
             
	;;#ASMEND
	;;#ASMSTART
	
             v_fmac_f32 v17, v98, v107 
             
	;;#ASMEND
	;; [unrolled: 5-line block ×16, first 2 shown]
	ds_read_b128 v[98:101], v86 offset:6656
	s_waitcnt lgkmcnt(1)
	;;#ASMSTART
	
             v_fmac_f32 v4, v110, v102 
             
	;;#ASMEND
	;;#ASMSTART
	
             v_fmac_f32 v5, v110, v103 
             
	;;#ASMEND
	;; [unrolled: 5-line block ×16, first 2 shown]
	ds_read_b128 v[102:105], v87 offset:23040
	;;#ASMSTART
	
             v_fmac_f32 v8, v110, v106 
             
	;;#ASMEND
	;;#ASMSTART
	
             v_fmac_f32 v9, v110, v107 
             
	;;#ASMEND
	;; [unrolled: 5-line block ×16, first 2 shown]
	ds_read_b128 v[106:109], v87 offset:23296
	ds_read_b128 v[110:113], v86 offset:6912
	s_waitcnt lgkmcnt(2)
	;;#ASMSTART
	
             v_fmac_f32 v0, v98, v102 
             
	;;#ASMEND
	;;#ASMSTART
	
             v_fmac_f32 v1, v98, v103 
             
	;;#ASMEND
	;; [unrolled: 5-line block ×16, first 2 shown]
	s_waitcnt lgkmcnt(1)
	;;#ASMSTART
	
             v_fmac_f32 v16, v98, v106 
             
	;;#ASMEND
	;;#ASMSTART
	
             v_fmac_f32 v17, v98, v107 
             
	;;#ASMEND
	;;#ASMSTART
	
             v_fmac_f32 v18, v98, v108 
             
	;;#ASMEND
	;;#ASMSTART
	
             v_fmac_f32 v19, v98, v109 
             
	;;#ASMEND
	;;#ASMSTART
	
             v_fmac_f32 v40, v99, v106 
             
	;;#ASMEND
	;;#ASMSTART
	
             v_fmac_f32 v41, v99, v107 
             
	;;#ASMEND
	;;#ASMSTART
	
             v_fmac_f32 v42, v99, v108 
             
	;;#ASMEND
	;;#ASMSTART
	
             v_fmac_f32 v43, v99, v109 
             
	;;#ASMEND
	;;#ASMSTART
	
             v_fmac_f32 v32, v100, v106 
             
	;;#ASMEND
	;;#ASMSTART
	
             v_fmac_f32 v33, v100, v107 
             
	;;#ASMEND
	;;#ASMSTART
	
             v_fmac_f32 v34, v100, v108 
             
	;;#ASMEND
	;;#ASMSTART
	
             v_fmac_f32 v35, v100, v109 
             
	;;#ASMEND
	;;#ASMSTART
	
             v_fmac_f32 v44, v101, v106 
             
	;;#ASMEND
	;;#ASMSTART
	
             v_fmac_f32 v45, v101, v107 
             
	;;#ASMEND
	;;#ASMSTART
	
             v_fmac_f32 v46, v101, v108 
             
	;;#ASMEND
	;;#ASMSTART
	
             v_fmac_f32 v47, v101, v109 
             
	;;#ASMEND
	ds_read_b128 v[98:101], v86 offset:7168
	s_waitcnt lgkmcnt(1)
	;;#ASMSTART
	
             v_fmac_f32 v4, v110, v102 
             
	;;#ASMEND
	;;#ASMSTART
	
             v_fmac_f32 v5, v110, v103 
             
	;;#ASMEND
	;; [unrolled: 5-line block ×16, first 2 shown]
	ds_read_b128 v[102:105], v87 offset:23552
	;;#ASMSTART
	
             v_fmac_f32 v8, v110, v106 
             
	;;#ASMEND
	;;#ASMSTART
	
             v_fmac_f32 v9, v110, v107 
             
	;;#ASMEND
	;; [unrolled: 5-line block ×16, first 2 shown]
	ds_read_b128 v[106:109], v87 offset:23808
	ds_read_b128 v[110:113], v86 offset:7424
	s_waitcnt lgkmcnt(2)
	;;#ASMSTART
	
             v_fmac_f32 v0, v98, v102 
             
	;;#ASMEND
	;;#ASMSTART
	
             v_fmac_f32 v1, v98, v103 
             
	;;#ASMEND
	;; [unrolled: 5-line block ×16, first 2 shown]
	s_waitcnt lgkmcnt(1)
	;;#ASMSTART
	
             v_fmac_f32 v16, v98, v106 
             
	;;#ASMEND
	;;#ASMSTART
	
             v_fmac_f32 v17, v98, v107 
             
	;;#ASMEND
	;;#ASMSTART
	
             v_fmac_f32 v18, v98, v108 
             
	;;#ASMEND
	;;#ASMSTART
	
             v_fmac_f32 v19, v98, v109 
             
	;;#ASMEND
	;;#ASMSTART
	
             v_fmac_f32 v40, v99, v106 
             
	;;#ASMEND
	;;#ASMSTART
	
             v_fmac_f32 v41, v99, v107 
             
	;;#ASMEND
	;;#ASMSTART
	
             v_fmac_f32 v42, v99, v108 
             
	;;#ASMEND
	;;#ASMSTART
	
             v_fmac_f32 v43, v99, v109 
             
	;;#ASMEND
	;;#ASMSTART
	
             v_fmac_f32 v32, v100, v106 
             
	;;#ASMEND
	;;#ASMSTART
	
             v_fmac_f32 v33, v100, v107 
             
	;;#ASMEND
	;;#ASMSTART
	
             v_fmac_f32 v34, v100, v108 
             
	;;#ASMEND
	;;#ASMSTART
	
             v_fmac_f32 v35, v100, v109 
             
	;;#ASMEND
	;;#ASMSTART
	
             v_fmac_f32 v44, v101, v106 
             
	;;#ASMEND
	;;#ASMSTART
	
             v_fmac_f32 v45, v101, v107 
             
	;;#ASMEND
	;;#ASMSTART
	
             v_fmac_f32 v46, v101, v108 
             
	;;#ASMEND
	;;#ASMSTART
	
             v_fmac_f32 v47, v101, v109 
             
	;;#ASMEND
	ds_read_b128 v[98:101], v86 offset:7680
	s_waitcnt lgkmcnt(1)
	;;#ASMSTART
	
             v_fmac_f32 v4, v110, v102 
             
	;;#ASMEND
	;;#ASMSTART
	
             v_fmac_f32 v5, v110, v103 
             
	;;#ASMEND
	;; [unrolled: 5-line block ×16, first 2 shown]
	ds_read_b128 v[102:105], v87 offset:24064
	;;#ASMSTART
	
             v_fmac_f32 v8, v110, v106 
             
	;;#ASMEND
	;;#ASMSTART
	
             v_fmac_f32 v9, v110, v107 
             
	;;#ASMEND
	;; [unrolled: 5-line block ×16, first 2 shown]
	ds_read_b128 v[106:109], v87 offset:24320
	ds_read_b128 v[110:113], v86 offset:7936
	v_add_u32_e32 v94, v80, v91
	v_add_u32_e32 v95, v80, v90
	;; [unrolled: 1-line block ×4, first 2 shown]
	s_waitcnt lgkmcnt(2)
	;;#ASMSTART
	
             v_fmac_f32 v0, v98, v102 
             
	;;#ASMEND
	;;#ASMSTART
	
             v_fmac_f32 v1, v98, v103 
             
	;;#ASMEND
	;;#ASMSTART
	
             v_fmac_f32 v2, v98, v104 
             
	;;#ASMEND
	;;#ASMSTART
	
             v_fmac_f32 v3, v98, v105 
             
	;;#ASMEND
	;;#ASMSTART
	
             v_fmac_f32 v12, v99, v102 
             
	;;#ASMEND
	;;#ASMSTART
	
             v_fmac_f32 v13, v99, v103 
             
	;;#ASMEND
	;;#ASMSTART
	
             v_fmac_f32 v14, v99, v104 
             
	;;#ASMEND
	;;#ASMSTART
	
             v_fmac_f32 v15, v99, v105 
             
	;;#ASMEND
	;;#ASMSTART
	
             v_fmac_f32 v24, v100, v102 
             
	;;#ASMEND
	;;#ASMSTART
	
             v_fmac_f32 v25, v100, v103 
             
	;;#ASMEND
	;;#ASMSTART
	
             v_fmac_f32 v26, v100, v104 
             
	;;#ASMEND
	;;#ASMSTART
	
             v_fmac_f32 v27, v100, v105 
             
	;;#ASMEND
	;;#ASMSTART
	
             v_fmac_f32 v20, v101, v102 
             
	;;#ASMEND
	;;#ASMSTART
	
             v_fmac_f32 v21, v101, v103 
             
	;;#ASMEND
	;;#ASMSTART
	
             v_fmac_f32 v22, v101, v104 
             
	;;#ASMEND
	;;#ASMSTART
	
             v_fmac_f32 v23, v101, v105 
             
	;;#ASMEND
	s_waitcnt lgkmcnt(1)
	;;#ASMSTART
	
             v_fmac_f32 v16, v98, v106 
             
	;;#ASMEND
	;;#ASMSTART
	
             v_fmac_f32 v17, v98, v107 
             
	;;#ASMEND
	;; [unrolled: 5-line block ×16, first 2 shown]
	s_waitcnt lgkmcnt(0)
	;;#ASMSTART
	
             v_fmac_f32 v4, v110, v102 
             
	;;#ASMEND
	;;#ASMSTART
	
             v_fmac_f32 v5, v110, v103 
             
	;;#ASMEND
	;; [unrolled: 5-line block ×32, first 2 shown]
	ds_write_b128 v81, v[64:67] offset:8192
	ds_write_b128 v81, v[68:71] offset:8704
	;; [unrolled: 1-line block ×4, first 2 shown]
	buffer_load_dwordx4 v[64:67], v94, s[4:7], 0 offen
	buffer_load_dwordx4 v[68:71], v95, s[4:7], 0 offen
	;; [unrolled: 1-line block ×4, first 2 shown]
	s_waitcnt vmcnt(0) lgkmcnt(0)
	s_barrier
	ds_read_b128 v[94:97], v86 offset:8192
	ds_read_b128 v[98:101], v87 offset:24576
	;; [unrolled: 1-line block ×4, first 2 shown]
	s_waitcnt lgkmcnt(2)
	;;#ASMSTART
	
             v_fmac_f32 v0, v94, v98 
             
	;;#ASMEND
	;;#ASMSTART
	
             v_fmac_f32 v1, v94, v99 
             
	;;#ASMEND
	;; [unrolled: 5-line block ×16, first 2 shown]
	s_waitcnt lgkmcnt(1)
	;;#ASMSTART
	
             v_fmac_f32 v16, v94, v102 
             
	;;#ASMEND
	;;#ASMSTART
	
             v_fmac_f32 v17, v94, v103 
             
	;;#ASMEND
	;; [unrolled: 5-line block ×16, first 2 shown]
	ds_read_b128 v[94:97], v86 offset:8704
	s_waitcnt lgkmcnt(1)
	;;#ASMSTART
	
             v_fmac_f32 v4, v106, v98 
             
	;;#ASMEND
	;;#ASMSTART
	
             v_fmac_f32 v5, v106, v99 
             
	;;#ASMEND
	;; [unrolled: 5-line block ×16, first 2 shown]
	ds_read_b128 v[98:101], v87 offset:25088
	;;#ASMSTART
	
             v_fmac_f32 v8, v106, v102 
             
	;;#ASMEND
	;;#ASMSTART
	
             v_fmac_f32 v9, v106, v103 
             
	;;#ASMEND
	;; [unrolled: 5-line block ×16, first 2 shown]
	ds_read_b128 v[102:105], v87 offset:25344
	ds_read_b128 v[106:109], v86 offset:8960
	s_waitcnt lgkmcnt(2)
	;;#ASMSTART
	
             v_fmac_f32 v0, v94, v98 
             
	;;#ASMEND
	;;#ASMSTART
	
             v_fmac_f32 v1, v94, v99 
             
	;;#ASMEND
	;; [unrolled: 5-line block ×16, first 2 shown]
	s_waitcnt lgkmcnt(1)
	;;#ASMSTART
	
             v_fmac_f32 v16, v94, v102 
             
	;;#ASMEND
	;;#ASMSTART
	
             v_fmac_f32 v17, v94, v103 
             
	;;#ASMEND
	;;#ASMSTART
	
             v_fmac_f32 v18, v94, v104 
             
	;;#ASMEND
	;;#ASMSTART
	
             v_fmac_f32 v19, v94, v105 
             
	;;#ASMEND
	;;#ASMSTART
	
             v_fmac_f32 v40, v95, v102 
             
	;;#ASMEND
	;;#ASMSTART
	
             v_fmac_f32 v41, v95, v103 
             
	;;#ASMEND
	;;#ASMSTART
	
             v_fmac_f32 v42, v95, v104 
             
	;;#ASMEND
	;;#ASMSTART
	
             v_fmac_f32 v43, v95, v105 
             
	;;#ASMEND
	;;#ASMSTART
	
             v_fmac_f32 v32, v96, v102 
             
	;;#ASMEND
	;;#ASMSTART
	
             v_fmac_f32 v33, v96, v103 
             
	;;#ASMEND
	;;#ASMSTART
	
             v_fmac_f32 v34, v96, v104 
             
	;;#ASMEND
	;;#ASMSTART
	
             v_fmac_f32 v35, v96, v105 
             
	;;#ASMEND
	;;#ASMSTART
	
             v_fmac_f32 v44, v97, v102 
             
	;;#ASMEND
	;;#ASMSTART
	
             v_fmac_f32 v45, v97, v103 
             
	;;#ASMEND
	;;#ASMSTART
	
             v_fmac_f32 v46, v97, v104 
             
	;;#ASMEND
	;;#ASMSTART
	
             v_fmac_f32 v47, v97, v105 
             
	;;#ASMEND
	ds_read_b128 v[94:97], v86 offset:9216
	s_waitcnt lgkmcnt(1)
	;;#ASMSTART
	
             v_fmac_f32 v4, v106, v98 
             
	;;#ASMEND
	;;#ASMSTART
	
             v_fmac_f32 v5, v106, v99 
             
	;;#ASMEND
	;; [unrolled: 5-line block ×16, first 2 shown]
	ds_read_b128 v[98:101], v87 offset:25600
	;;#ASMSTART
	
             v_fmac_f32 v8, v106, v102 
             
	;;#ASMEND
	;;#ASMSTART
	
             v_fmac_f32 v9, v106, v103 
             
	;;#ASMEND
	;; [unrolled: 5-line block ×16, first 2 shown]
	ds_read_b128 v[102:105], v87 offset:25856
	ds_read_b128 v[106:109], v86 offset:9472
	s_waitcnt lgkmcnt(2)
	;;#ASMSTART
	
             v_fmac_f32 v0, v94, v98 
             
	;;#ASMEND
	;;#ASMSTART
	
             v_fmac_f32 v1, v94, v99 
             
	;;#ASMEND
	;; [unrolled: 5-line block ×16, first 2 shown]
	s_waitcnt lgkmcnt(1)
	;;#ASMSTART
	
             v_fmac_f32 v16, v94, v102 
             
	;;#ASMEND
	;;#ASMSTART
	
             v_fmac_f32 v17, v94, v103 
             
	;;#ASMEND
	;; [unrolled: 5-line block ×16, first 2 shown]
	ds_read_b128 v[94:97], v86 offset:9728
	s_waitcnt lgkmcnt(1)
	;;#ASMSTART
	
             v_fmac_f32 v4, v106, v98 
             
	;;#ASMEND
	;;#ASMSTART
	
             v_fmac_f32 v5, v106, v99 
             
	;;#ASMEND
	;; [unrolled: 5-line block ×16, first 2 shown]
	ds_read_b128 v[98:101], v87 offset:26112
	;;#ASMSTART
	
             v_fmac_f32 v8, v106, v102 
             
	;;#ASMEND
	;;#ASMSTART
	
             v_fmac_f32 v9, v106, v103 
             
	;;#ASMEND
	;; [unrolled: 5-line block ×16, first 2 shown]
	ds_read_b128 v[102:105], v87 offset:26368
	ds_read_b128 v[106:109], v86 offset:9984
	s_waitcnt lgkmcnt(2)
	;;#ASMSTART
	
             v_fmac_f32 v0, v94, v98 
             
	;;#ASMEND
	;;#ASMSTART
	
             v_fmac_f32 v1, v94, v99 
             
	;;#ASMEND
	;; [unrolled: 5-line block ×16, first 2 shown]
	s_waitcnt lgkmcnt(1)
	;;#ASMSTART
	
             v_fmac_f32 v16, v94, v102 
             
	;;#ASMEND
	;;#ASMSTART
	
             v_fmac_f32 v17, v94, v103 
             
	;;#ASMEND
	;; [unrolled: 5-line block ×16, first 2 shown]
	ds_read_b128 v[94:97], v86 offset:10240
	s_waitcnt lgkmcnt(1)
	;;#ASMSTART
	
             v_fmac_f32 v4, v106, v98 
             
	;;#ASMEND
	;;#ASMSTART
	
             v_fmac_f32 v5, v106, v99 
             
	;;#ASMEND
	;; [unrolled: 5-line block ×16, first 2 shown]
	ds_read_b128 v[98:101], v87 offset:26624
	;;#ASMSTART
	
             v_fmac_f32 v8, v106, v102 
             
	;;#ASMEND
	;;#ASMSTART
	
             v_fmac_f32 v9, v106, v103 
             
	;;#ASMEND
	;; [unrolled: 5-line block ×16, first 2 shown]
	ds_read_b128 v[102:105], v87 offset:26880
	ds_read_b128 v[106:109], v86 offset:10496
	s_waitcnt lgkmcnt(2)
	;;#ASMSTART
	
             v_fmac_f32 v0, v94, v98 
             
	;;#ASMEND
	;;#ASMSTART
	
             v_fmac_f32 v1, v94, v99 
             
	;;#ASMEND
	;;#ASMSTART
	
             v_fmac_f32 v2, v94, v100 
             
	;;#ASMEND
	;;#ASMSTART
	
             v_fmac_f32 v3, v94, v101 
             
	;;#ASMEND
	;;#ASMSTART
	
             v_fmac_f32 v12, v95, v98 
             
	;;#ASMEND
	;;#ASMSTART
	
             v_fmac_f32 v13, v95, v99 
             
	;;#ASMEND
	;;#ASMSTART
	
             v_fmac_f32 v14, v95, v100 
             
	;;#ASMEND
	;;#ASMSTART
	
             v_fmac_f32 v15, v95, v101 
             
	;;#ASMEND
	;;#ASMSTART
	
             v_fmac_f32 v24, v96, v98 
             
	;;#ASMEND
	;;#ASMSTART
	
             v_fmac_f32 v25, v96, v99 
             
	;;#ASMEND
	;;#ASMSTART
	
             v_fmac_f32 v26, v96, v100 
             
	;;#ASMEND
	;;#ASMSTART
	
             v_fmac_f32 v27, v96, v101 
             
	;;#ASMEND
	;;#ASMSTART
	
             v_fmac_f32 v20, v97, v98 
             
	;;#ASMEND
	;;#ASMSTART
	
             v_fmac_f32 v21, v97, v99 
             
	;;#ASMEND
	;;#ASMSTART
	
             v_fmac_f32 v22, v97, v100 
             
	;;#ASMEND
	;;#ASMSTART
	
             v_fmac_f32 v23, v97, v101 
             
	;;#ASMEND
	s_waitcnt lgkmcnt(1)
	;;#ASMSTART
	
             v_fmac_f32 v16, v94, v102 
             
	;;#ASMEND
	;;#ASMSTART
	
             v_fmac_f32 v17, v94, v103 
             
	;;#ASMEND
	;; [unrolled: 5-line block ×16, first 2 shown]
	ds_read_b128 v[94:97], v86 offset:10752
	s_waitcnt lgkmcnt(1)
	;;#ASMSTART
	
             v_fmac_f32 v4, v106, v98 
             
	;;#ASMEND
	;;#ASMSTART
	
             v_fmac_f32 v5, v106, v99 
             
	;;#ASMEND
	;; [unrolled: 5-line block ×16, first 2 shown]
	ds_read_b128 v[98:101], v87 offset:27136
	;;#ASMSTART
	
             v_fmac_f32 v8, v106, v102 
             
	;;#ASMEND
	;;#ASMSTART
	
             v_fmac_f32 v9, v106, v103 
             
	;;#ASMEND
	;; [unrolled: 5-line block ×16, first 2 shown]
	ds_read_b128 v[102:105], v87 offset:27392
	ds_read_b128 v[106:109], v86 offset:11008
	s_waitcnt lgkmcnt(2)
	;;#ASMSTART
	
             v_fmac_f32 v0, v94, v98 
             
	;;#ASMEND
	;;#ASMSTART
	
             v_fmac_f32 v1, v94, v99 
             
	;;#ASMEND
	;; [unrolled: 5-line block ×16, first 2 shown]
	s_waitcnt lgkmcnt(1)
	;;#ASMSTART
	
             v_fmac_f32 v16, v94, v102 
             
	;;#ASMEND
	;;#ASMSTART
	
             v_fmac_f32 v17, v94, v103 
             
	;;#ASMEND
	;; [unrolled: 5-line block ×16, first 2 shown]
	ds_read_b128 v[94:97], v86 offset:11264
	s_waitcnt lgkmcnt(1)
	;;#ASMSTART
	
             v_fmac_f32 v4, v106, v98 
             
	;;#ASMEND
	;;#ASMSTART
	
             v_fmac_f32 v5, v106, v99 
             
	;;#ASMEND
	;; [unrolled: 5-line block ×16, first 2 shown]
	ds_read_b128 v[98:101], v87 offset:27648
	;;#ASMSTART
	
             v_fmac_f32 v8, v106, v102 
             
	;;#ASMEND
	;;#ASMSTART
	
             v_fmac_f32 v9, v106, v103 
             
	;;#ASMEND
	;; [unrolled: 5-line block ×16, first 2 shown]
	ds_read_b128 v[102:105], v87 offset:27904
	ds_read_b128 v[106:109], v86 offset:11520
	s_waitcnt lgkmcnt(2)
	;;#ASMSTART
	
             v_fmac_f32 v0, v94, v98 
             
	;;#ASMEND
	;;#ASMSTART
	
             v_fmac_f32 v1, v94, v99 
             
	;;#ASMEND
	;; [unrolled: 5-line block ×16, first 2 shown]
	s_waitcnt lgkmcnt(1)
	;;#ASMSTART
	
             v_fmac_f32 v16, v94, v102 
             
	;;#ASMEND
	;;#ASMSTART
	
             v_fmac_f32 v17, v94, v103 
             
	;;#ASMEND
	;; [unrolled: 5-line block ×16, first 2 shown]
	ds_read_b128 v[94:97], v86 offset:11776
	s_waitcnt lgkmcnt(1)
	;;#ASMSTART
	
             v_fmac_f32 v4, v106, v98 
             
	;;#ASMEND
	;;#ASMSTART
	
             v_fmac_f32 v5, v106, v99 
             
	;;#ASMEND
	;; [unrolled: 5-line block ×16, first 2 shown]
	ds_read_b128 v[98:101], v87 offset:28160
	;;#ASMSTART
	
             v_fmac_f32 v8, v106, v102 
             
	;;#ASMEND
	;;#ASMSTART
	
             v_fmac_f32 v9, v106, v103 
             
	;;#ASMEND
	;; [unrolled: 5-line block ×16, first 2 shown]
	ds_read_b128 v[102:105], v87 offset:28416
	ds_read_b128 v[106:109], v86 offset:12032
	s_waitcnt lgkmcnt(2)
	;;#ASMSTART
	
             v_fmac_f32 v0, v94, v98 
             
	;;#ASMEND
	;;#ASMSTART
	
             v_fmac_f32 v1, v94, v99 
             
	;;#ASMEND
	;; [unrolled: 5-line block ×16, first 2 shown]
	s_waitcnt lgkmcnt(1)
	;;#ASMSTART
	
             v_fmac_f32 v16, v94, v102 
             
	;;#ASMEND
	;;#ASMSTART
	
             v_fmac_f32 v17, v94, v103 
             
	;;#ASMEND
	;; [unrolled: 5-line block ×16, first 2 shown]
	ds_read_b128 v[94:97], v86 offset:12288
	s_waitcnt lgkmcnt(1)
	;;#ASMSTART
	
             v_fmac_f32 v4, v106, v98 
             
	;;#ASMEND
	;;#ASMSTART
	
             v_fmac_f32 v5, v106, v99 
             
	;;#ASMEND
	;; [unrolled: 5-line block ×16, first 2 shown]
	ds_read_b128 v[98:101], v87 offset:28672
	;;#ASMSTART
	
             v_fmac_f32 v8, v106, v102 
             
	;;#ASMEND
	;;#ASMSTART
	
             v_fmac_f32 v9, v106, v103 
             
	;;#ASMEND
	;; [unrolled: 5-line block ×16, first 2 shown]
	ds_read_b128 v[102:105], v87 offset:28928
	ds_read_b128 v[106:109], v86 offset:12544
	s_waitcnt lgkmcnt(2)
	;;#ASMSTART
	
             v_fmac_f32 v0, v94, v98 
             
	;;#ASMEND
	;;#ASMSTART
	
             v_fmac_f32 v1, v94, v99 
             
	;;#ASMEND
	;; [unrolled: 5-line block ×16, first 2 shown]
	s_waitcnt lgkmcnt(1)
	;;#ASMSTART
	
             v_fmac_f32 v16, v94, v102 
             
	;;#ASMEND
	;;#ASMSTART
	
             v_fmac_f32 v17, v94, v103 
             
	;;#ASMEND
	;; [unrolled: 5-line block ×16, first 2 shown]
	ds_read_b128 v[94:97], v86 offset:12800
	s_waitcnt lgkmcnt(1)
	;;#ASMSTART
	
             v_fmac_f32 v4, v106, v98 
             
	;;#ASMEND
	;;#ASMSTART
	
             v_fmac_f32 v5, v106, v99 
             
	;;#ASMEND
	;; [unrolled: 5-line block ×16, first 2 shown]
	ds_read_b128 v[98:101], v87 offset:29184
	;;#ASMSTART
	
             v_fmac_f32 v8, v106, v102 
             
	;;#ASMEND
	;;#ASMSTART
	
             v_fmac_f32 v9, v106, v103 
             
	;;#ASMEND
	;;#ASMSTART
	
             v_fmac_f32 v10, v106, v104 
             
	;;#ASMEND
	;;#ASMSTART
	
             v_fmac_f32 v11, v106, v105 
             
	;;#ASMEND
	;;#ASMSTART
	
             v_fmac_f32 v36, v107, v102 
             
	;;#ASMEND
	;;#ASMSTART
	
             v_fmac_f32 v37, v107, v103 
             
	;;#ASMEND
	;;#ASMSTART
	
             v_fmac_f32 v38, v107, v104 
             
	;;#ASMEND
	;;#ASMSTART
	
             v_fmac_f32 v39, v107, v105 
             
	;;#ASMEND
	;;#ASMSTART
	
             v_fmac_f32 v52, v108, v102 
             
	;;#ASMEND
	;;#ASMSTART
	
             v_fmac_f32 v53, v108, v103 
             
	;;#ASMEND
	;;#ASMSTART
	
             v_fmac_f32 v54, v108, v104 
             
	;;#ASMEND
	;;#ASMSTART
	
             v_fmac_f32 v55, v108, v105 
             
	;;#ASMEND
	;;#ASMSTART
	
             v_fmac_f32 v60, v109, v102 
             
	;;#ASMEND
	;;#ASMSTART
	
             v_fmac_f32 v61, v109, v103 
             
	;;#ASMEND
	;;#ASMSTART
	
             v_fmac_f32 v62, v109, v104 
             
	;;#ASMEND
	;;#ASMSTART
	
             v_fmac_f32 v63, v109, v105 
             
	;;#ASMEND
	ds_read_b128 v[102:105], v87 offset:29440
	ds_read_b128 v[106:109], v86 offset:13056
	s_waitcnt lgkmcnt(2)
	;;#ASMSTART
	
             v_fmac_f32 v0, v94, v98 
             
	;;#ASMEND
	;;#ASMSTART
	
             v_fmac_f32 v1, v94, v99 
             
	;;#ASMEND
	;; [unrolled: 5-line block ×16, first 2 shown]
	s_waitcnt lgkmcnt(1)
	;;#ASMSTART
	
             v_fmac_f32 v16, v94, v102 
             
	;;#ASMEND
	;;#ASMSTART
	
             v_fmac_f32 v17, v94, v103 
             
	;;#ASMEND
	;; [unrolled: 5-line block ×16, first 2 shown]
	ds_read_b128 v[94:97], v86 offset:13312
	s_waitcnt lgkmcnt(1)
	;;#ASMSTART
	
             v_fmac_f32 v4, v106, v98 
             
	;;#ASMEND
	;;#ASMSTART
	
             v_fmac_f32 v5, v106, v99 
             
	;;#ASMEND
	;; [unrolled: 5-line block ×16, first 2 shown]
	ds_read_b128 v[98:101], v87 offset:29696
	;;#ASMSTART
	
             v_fmac_f32 v8, v106, v102 
             
	;;#ASMEND
	;;#ASMSTART
	
             v_fmac_f32 v9, v106, v103 
             
	;;#ASMEND
	;; [unrolled: 5-line block ×16, first 2 shown]
	ds_read_b128 v[102:105], v87 offset:29952
	ds_read_b128 v[106:109], v86 offset:13568
	s_waitcnt lgkmcnt(2)
	;;#ASMSTART
	
             v_fmac_f32 v0, v94, v98 
             
	;;#ASMEND
	;;#ASMSTART
	
             v_fmac_f32 v1, v94, v99 
             
	;;#ASMEND
	;; [unrolled: 5-line block ×16, first 2 shown]
	s_waitcnt lgkmcnt(1)
	;;#ASMSTART
	
             v_fmac_f32 v16, v94, v102 
             
	;;#ASMEND
	;;#ASMSTART
	
             v_fmac_f32 v17, v94, v103 
             
	;;#ASMEND
	;; [unrolled: 5-line block ×16, first 2 shown]
	ds_read_b128 v[94:97], v86 offset:13824
	s_waitcnt lgkmcnt(1)
	;;#ASMSTART
	
             v_fmac_f32 v4, v106, v98 
             
	;;#ASMEND
	;;#ASMSTART
	
             v_fmac_f32 v5, v106, v99 
             
	;;#ASMEND
	;; [unrolled: 5-line block ×16, first 2 shown]
	ds_read_b128 v[98:101], v87 offset:30208
	;;#ASMSTART
	
             v_fmac_f32 v8, v106, v102 
             
	;;#ASMEND
	;;#ASMSTART
	
             v_fmac_f32 v9, v106, v103 
             
	;;#ASMEND
	;; [unrolled: 5-line block ×16, first 2 shown]
	ds_read_b128 v[102:105], v87 offset:30464
	ds_read_b128 v[106:109], v86 offset:14080
	s_waitcnt lgkmcnt(2)
	;;#ASMSTART
	
             v_fmac_f32 v0, v94, v98 
             
	;;#ASMEND
	;;#ASMSTART
	
             v_fmac_f32 v1, v94, v99 
             
	;;#ASMEND
	;; [unrolled: 5-line block ×16, first 2 shown]
	s_waitcnt lgkmcnt(1)
	;;#ASMSTART
	
             v_fmac_f32 v16, v94, v102 
             
	;;#ASMEND
	;;#ASMSTART
	
             v_fmac_f32 v17, v94, v103 
             
	;;#ASMEND
	;; [unrolled: 5-line block ×16, first 2 shown]
	ds_read_b128 v[94:97], v86 offset:14336
	s_waitcnt lgkmcnt(1)
	;;#ASMSTART
	
             v_fmac_f32 v4, v106, v98 
             
	;;#ASMEND
	;;#ASMSTART
	
             v_fmac_f32 v5, v106, v99 
             
	;;#ASMEND
	;; [unrolled: 5-line block ×16, first 2 shown]
	ds_read_b128 v[98:101], v87 offset:30720
	;;#ASMSTART
	
             v_fmac_f32 v8, v106, v102 
             
	;;#ASMEND
	;;#ASMSTART
	
             v_fmac_f32 v9, v106, v103 
             
	;;#ASMEND
	;; [unrolled: 5-line block ×16, first 2 shown]
	ds_read_b128 v[102:105], v87 offset:30976
	ds_read_b128 v[106:109], v86 offset:14592
	s_waitcnt lgkmcnt(2)
	;;#ASMSTART
	
             v_fmac_f32 v0, v94, v98 
             
	;;#ASMEND
	;;#ASMSTART
	
             v_fmac_f32 v1, v94, v99 
             
	;;#ASMEND
	;; [unrolled: 5-line block ×16, first 2 shown]
	s_waitcnt lgkmcnt(1)
	;;#ASMSTART
	
             v_fmac_f32 v16, v94, v102 
             
	;;#ASMEND
	;;#ASMSTART
	
             v_fmac_f32 v17, v94, v103 
             
	;;#ASMEND
	;; [unrolled: 5-line block ×16, first 2 shown]
	ds_read_b128 v[94:97], v86 offset:14848
	s_waitcnt lgkmcnt(1)
	;;#ASMSTART
	
             v_fmac_f32 v4, v106, v98 
             
	;;#ASMEND
	;;#ASMSTART
	
             v_fmac_f32 v5, v106, v99 
             
	;;#ASMEND
	;; [unrolled: 5-line block ×16, first 2 shown]
	ds_read_b128 v[98:101], v87 offset:31232
	;;#ASMSTART
	
             v_fmac_f32 v8, v106, v102 
             
	;;#ASMEND
	;;#ASMSTART
	
             v_fmac_f32 v9, v106, v103 
             
	;;#ASMEND
	;;#ASMSTART
	
             v_fmac_f32 v10, v106, v104 
             
	;;#ASMEND
	;;#ASMSTART
	
             v_fmac_f32 v11, v106, v105 
             
	;;#ASMEND
	;;#ASMSTART
	
             v_fmac_f32 v36, v107, v102 
             
	;;#ASMEND
	;;#ASMSTART
	
             v_fmac_f32 v37, v107, v103 
             
	;;#ASMEND
	;;#ASMSTART
	
             v_fmac_f32 v38, v107, v104 
             
	;;#ASMEND
	;;#ASMSTART
	
             v_fmac_f32 v39, v107, v105 
             
	;;#ASMEND
	;;#ASMSTART
	
             v_fmac_f32 v52, v108, v102 
             
	;;#ASMEND
	;;#ASMSTART
	
             v_fmac_f32 v53, v108, v103 
             
	;;#ASMEND
	;;#ASMSTART
	
             v_fmac_f32 v54, v108, v104 
             
	;;#ASMEND
	;;#ASMSTART
	
             v_fmac_f32 v55, v108, v105 
             
	;;#ASMEND
	;;#ASMSTART
	
             v_fmac_f32 v60, v109, v102 
             
	;;#ASMEND
	;;#ASMSTART
	
             v_fmac_f32 v61, v109, v103 
             
	;;#ASMEND
	;;#ASMSTART
	
             v_fmac_f32 v62, v109, v104 
             
	;;#ASMEND
	;;#ASMSTART
	
             v_fmac_f32 v63, v109, v105 
             
	;;#ASMEND
	ds_read_b128 v[102:105], v87 offset:31488
	ds_read_b128 v[106:109], v86 offset:15104
	s_waitcnt lgkmcnt(2)
	;;#ASMSTART
	
             v_fmac_f32 v0, v94, v98 
             
	;;#ASMEND
	;;#ASMSTART
	
             v_fmac_f32 v1, v94, v99 
             
	;;#ASMEND
	;; [unrolled: 5-line block ×16, first 2 shown]
	s_waitcnt lgkmcnt(1)
	;;#ASMSTART
	
             v_fmac_f32 v16, v94, v102 
             
	;;#ASMEND
	;;#ASMSTART
	
             v_fmac_f32 v17, v94, v103 
             
	;;#ASMEND
	;; [unrolled: 5-line block ×16, first 2 shown]
	ds_read_b128 v[94:97], v86 offset:15360
	s_waitcnt lgkmcnt(1)
	;;#ASMSTART
	
             v_fmac_f32 v4, v106, v98 
             
	;;#ASMEND
	;;#ASMSTART
	
             v_fmac_f32 v5, v106, v99 
             
	;;#ASMEND
	;;#ASMSTART
	
             v_fmac_f32 v6, v106, v100 
             
	;;#ASMEND
	;;#ASMSTART
	
             v_fmac_f32 v7, v106, v101 
             
	;;#ASMEND
	;;#ASMSTART
	
             v_fmac_f32 v28, v107, v98 
             
	;;#ASMEND
	;;#ASMSTART
	
             v_fmac_f32 v29, v107, v99 
             
	;;#ASMEND
	;;#ASMSTART
	
             v_fmac_f32 v30, v107, v100 
             
	;;#ASMEND
	;;#ASMSTART
	
             v_fmac_f32 v31, v107, v101 
             
	;;#ASMEND
	;;#ASMSTART
	
             v_fmac_f32 v48, v108, v98 
             
	;;#ASMEND
	;;#ASMSTART
	
             v_fmac_f32 v49, v108, v99 
             
	;;#ASMEND
	;;#ASMSTART
	
             v_fmac_f32 v50, v108, v100 
             
	;;#ASMEND
	;;#ASMSTART
	
             v_fmac_f32 v51, v108, v101 
             
	;;#ASMEND
	;;#ASMSTART
	
             v_fmac_f32 v56, v109, v98 
             
	;;#ASMEND
	;;#ASMSTART
	
             v_fmac_f32 v57, v109, v99 
             
	;;#ASMEND
	;;#ASMSTART
	
             v_fmac_f32 v58, v109, v100 
             
	;;#ASMEND
	;;#ASMSTART
	
             v_fmac_f32 v59, v109, v101 
             
	;;#ASMEND
	ds_read_b128 v[98:101], v87 offset:31744
	;;#ASMSTART
	
             v_fmac_f32 v8, v106, v102 
             
	;;#ASMEND
	;;#ASMSTART
	
             v_fmac_f32 v9, v106, v103 
             
	;;#ASMEND
	;; [unrolled: 5-line block ×16, first 2 shown]
	ds_read_b128 v[102:105], v87 offset:32000
	ds_read_b128 v[106:109], v86 offset:15616
	s_waitcnt lgkmcnt(2)
	;;#ASMSTART
	
             v_fmac_f32 v0, v94, v98 
             
	;;#ASMEND
	;;#ASMSTART
	
             v_fmac_f32 v1, v94, v99 
             
	;;#ASMEND
	;; [unrolled: 5-line block ×16, first 2 shown]
	s_waitcnt lgkmcnt(1)
	;;#ASMSTART
	
             v_fmac_f32 v16, v94, v102 
             
	;;#ASMEND
	;;#ASMSTART
	
             v_fmac_f32 v17, v94, v103 
             
	;;#ASMEND
	;; [unrolled: 5-line block ×16, first 2 shown]
	ds_read_b128 v[94:97], v86 offset:15872
	s_waitcnt lgkmcnt(1)
	;;#ASMSTART
	
             v_fmac_f32 v4, v106, v98 
             
	;;#ASMEND
	;;#ASMSTART
	
             v_fmac_f32 v5, v106, v99 
             
	;;#ASMEND
	;; [unrolled: 5-line block ×16, first 2 shown]
	ds_read_b128 v[98:101], v87 offset:32256
	;;#ASMSTART
	
             v_fmac_f32 v8, v106, v102 
             
	;;#ASMEND
	;;#ASMSTART
	
             v_fmac_f32 v9, v106, v103 
             
	;;#ASMEND
	;;#ASMSTART
	
             v_fmac_f32 v10, v106, v104 
             
	;;#ASMEND
	;;#ASMSTART
	
             v_fmac_f32 v11, v106, v105 
             
	;;#ASMEND
	;;#ASMSTART
	
             v_fmac_f32 v36, v107, v102 
             
	;;#ASMEND
	;;#ASMSTART
	
             v_fmac_f32 v37, v107, v103 
             
	;;#ASMEND
	;;#ASMSTART
	
             v_fmac_f32 v38, v107, v104 
             
	;;#ASMEND
	;;#ASMSTART
	
             v_fmac_f32 v39, v107, v105 
             
	;;#ASMEND
	;;#ASMSTART
	
             v_fmac_f32 v52, v108, v102 
             
	;;#ASMEND
	;;#ASMSTART
	
             v_fmac_f32 v53, v108, v103 
             
	;;#ASMEND
	;;#ASMSTART
	
             v_fmac_f32 v54, v108, v104 
             
	;;#ASMEND
	;;#ASMSTART
	
             v_fmac_f32 v55, v108, v105 
             
	;;#ASMEND
	;;#ASMSTART
	
             v_fmac_f32 v60, v109, v102 
             
	;;#ASMEND
	;;#ASMSTART
	
             v_fmac_f32 v61, v109, v103 
             
	;;#ASMEND
	;;#ASMSTART
	
             v_fmac_f32 v62, v109, v104 
             
	;;#ASMEND
	;;#ASMSTART
	
             v_fmac_f32 v63, v109, v105 
             
	;;#ASMEND
	ds_read_b128 v[102:105], v87 offset:32512
	ds_read_b128 v[106:109], v86 offset:16128
	s_add_i32 s13, s13, 32
	v_add_u32_e32 v82, s18, v82
	v_add_u32_e32 v83, s18, v83
	;; [unrolled: 1-line block ×8, first 2 shown]
	s_cmp_lt_i32 s13, s15
	s_waitcnt lgkmcnt(2)
	;;#ASMSTART
	
             v_fmac_f32 v0, v94, v98 
             
	;;#ASMEND
	;;#ASMSTART
	
             v_fmac_f32 v1, v94, v99 
             
	;;#ASMEND
	;; [unrolled: 5-line block ×16, first 2 shown]
	s_waitcnt lgkmcnt(1)
	;;#ASMSTART
	
             v_fmac_f32 v16, v94, v102 
             
	;;#ASMEND
	;;#ASMSTART
	
             v_fmac_f32 v17, v94, v103 
             
	;;#ASMEND
	;;#ASMSTART
	
             v_fmac_f32 v18, v94, v104 
             
	;;#ASMEND
	;;#ASMSTART
	
             v_fmac_f32 v19, v94, v105 
             
	;;#ASMEND
	;;#ASMSTART
	
             v_fmac_f32 v40, v95, v102 
             
	;;#ASMEND
	;;#ASMSTART
	
             v_fmac_f32 v41, v95, v103 
             
	;;#ASMEND
	;;#ASMSTART
	
             v_fmac_f32 v42, v95, v104 
             
	;;#ASMEND
	;;#ASMSTART
	
             v_fmac_f32 v43, v95, v105 
             
	;;#ASMEND
	;;#ASMSTART
	
             v_fmac_f32 v32, v96, v102 
             
	;;#ASMEND
	;;#ASMSTART
	
             v_fmac_f32 v33, v96, v103 
             
	;;#ASMEND
	;;#ASMSTART
	
             v_fmac_f32 v34, v96, v104 
             
	;;#ASMEND
	;;#ASMSTART
	
             v_fmac_f32 v35, v96, v105 
             
	;;#ASMEND
	;;#ASMSTART
	
             v_fmac_f32 v44, v97, v102 
             
	;;#ASMEND
	;;#ASMSTART
	
             v_fmac_f32 v45, v97, v103 
             
	;;#ASMEND
	;;#ASMSTART
	
             v_fmac_f32 v46, v97, v104 
             
	;;#ASMEND
	;;#ASMSTART
	
             v_fmac_f32 v47, v97, v105 
             
	;;#ASMEND
	s_waitcnt lgkmcnt(0)
	;;#ASMSTART
	
             v_fmac_f32 v4, v106, v98 
             
	;;#ASMEND
	;;#ASMSTART
	
             v_fmac_f32 v5, v106, v99 
             
	;;#ASMEND
	;; [unrolled: 5-line block ×32, first 2 shown]
	ds_write_b128 v81, v[64:67]
	ds_write_b128 v81, v[68:71] offset:512
	ds_write_b128 v81, v[72:75] offset:16384
	;; [unrolled: 1-line block ×3, first 2 shown]
	s_cbranch_scc1 .LBB2_1
; %bb.2:
	s_waitcnt lgkmcnt(0)
	s_barrier
	ds_read_b128 v[68:71], v86
	ds_read_b128 v[72:75], v87 offset:16384
	ds_read_b128 v[64:67], v87 offset:16640
	ds_read_b128 v[76:79], v86 offset:256
	s_waitcnt lgkmcnt(2)
	;;#ASMSTART
	
             v_fmac_f32 v0, v68, v72 
             
	;;#ASMEND
	;;#ASMSTART
	
             v_fmac_f32 v1, v68, v73 
             
	;;#ASMEND
	;;#ASMSTART
	
             v_fmac_f32 v2, v68, v74 
             
	;;#ASMEND
	;;#ASMSTART
	
             v_fmac_f32 v3, v68, v75 
             
	;;#ASMEND
	;;#ASMSTART
	
             v_fmac_f32 v12, v69, v72 
             
	;;#ASMEND
	;;#ASMSTART
	
             v_fmac_f32 v13, v69, v73 
             
	;;#ASMEND
	;;#ASMSTART
	
             v_fmac_f32 v14, v69, v74 
             
	;;#ASMEND
	;;#ASMSTART
	
             v_fmac_f32 v15, v69, v75 
             
	;;#ASMEND
	;;#ASMSTART
	
             v_fmac_f32 v24, v70, v72 
             
	;;#ASMEND
	;;#ASMSTART
	
             v_fmac_f32 v25, v70, v73 
             
	;;#ASMEND
	;;#ASMSTART
	
             v_fmac_f32 v26, v70, v74 
             
	;;#ASMEND
	;;#ASMSTART
	
             v_fmac_f32 v27, v70, v75 
             
	;;#ASMEND
	;;#ASMSTART
	
             v_fmac_f32 v20, v71, v72 
             
	;;#ASMEND
	;;#ASMSTART
	
             v_fmac_f32 v21, v71, v73 
             
	;;#ASMEND
	;;#ASMSTART
	
             v_fmac_f32 v22, v71, v74 
             
	;;#ASMEND
	;;#ASMSTART
	
             v_fmac_f32 v23, v71, v75 
             
	;;#ASMEND
	s_waitcnt lgkmcnt(1)
	;;#ASMSTART
	
             v_fmac_f32 v16, v68, v64 
             
	;;#ASMEND
	;;#ASMSTART
	
             v_fmac_f32 v17, v68, v65 
             
	;;#ASMEND
	;; [unrolled: 5-line block ×16, first 2 shown]
	ds_read_b128 v[68:71], v86 offset:512
	s_waitcnt lgkmcnt(1)
	;;#ASMSTART
	
             v_fmac_f32 v4, v76, v72 
             
	;;#ASMEND
	;;#ASMSTART
	
             v_fmac_f32 v5, v76, v73 
             
	;;#ASMEND
	;; [unrolled: 5-line block ×16, first 2 shown]
	ds_read_b128 v[72:75], v87 offset:16896
	;;#ASMSTART
	
             v_fmac_f32 v8, v76, v64 
             
	;;#ASMEND
	;;#ASMSTART
	
             v_fmac_f32 v9, v76, v65 
             
	;;#ASMEND
	;; [unrolled: 5-line block ×16, first 2 shown]
	ds_read_b128 v[64:67], v87 offset:17152
	ds_read_b128 v[76:79], v86 offset:768
	s_waitcnt lgkmcnt(2)
	;;#ASMSTART
	
             v_fmac_f32 v0, v68, v72 
             
	;;#ASMEND
	;;#ASMSTART
	
             v_fmac_f32 v1, v68, v73 
             
	;;#ASMEND
	;; [unrolled: 5-line block ×16, first 2 shown]
	s_waitcnt lgkmcnt(1)
	;;#ASMSTART
	
             v_fmac_f32 v16, v68, v64 
             
	;;#ASMEND
	;;#ASMSTART
	
             v_fmac_f32 v17, v68, v65 
             
	;;#ASMEND
	;; [unrolled: 5-line block ×16, first 2 shown]
	ds_read_b128 v[68:71], v86 offset:1024
	s_waitcnt lgkmcnt(1)
	;;#ASMSTART
	
             v_fmac_f32 v4, v76, v72 
             
	;;#ASMEND
	;;#ASMSTART
	
             v_fmac_f32 v5, v76, v73 
             
	;;#ASMEND
	;; [unrolled: 5-line block ×16, first 2 shown]
	ds_read_b128 v[72:75], v87 offset:17408
	;;#ASMSTART
	
             v_fmac_f32 v8, v76, v64 
             
	;;#ASMEND
	;;#ASMSTART
	
             v_fmac_f32 v9, v76, v65 
             
	;;#ASMEND
	;; [unrolled: 5-line block ×16, first 2 shown]
	ds_read_b128 v[64:67], v87 offset:17664
	ds_read_b128 v[76:79], v86 offset:1280
	s_waitcnt lgkmcnt(2)
	;;#ASMSTART
	
             v_fmac_f32 v0, v68, v72 
             
	;;#ASMEND
	;;#ASMSTART
	
             v_fmac_f32 v1, v68, v73 
             
	;;#ASMEND
	;; [unrolled: 5-line block ×16, first 2 shown]
	s_waitcnt lgkmcnt(1)
	;;#ASMSTART
	
             v_fmac_f32 v16, v68, v64 
             
	;;#ASMEND
	;;#ASMSTART
	
             v_fmac_f32 v17, v68, v65 
             
	;;#ASMEND
	;; [unrolled: 5-line block ×16, first 2 shown]
	ds_read_b128 v[68:71], v86 offset:1536
	s_waitcnt lgkmcnt(1)
	;;#ASMSTART
	
             v_fmac_f32 v4, v76, v72 
             
	;;#ASMEND
	;;#ASMSTART
	
             v_fmac_f32 v5, v76, v73 
             
	;;#ASMEND
	;;#ASMSTART
	
             v_fmac_f32 v6, v76, v74 
             
	;;#ASMEND
	;;#ASMSTART
	
             v_fmac_f32 v7, v76, v75 
             
	;;#ASMEND
	;;#ASMSTART
	
             v_fmac_f32 v28, v77, v72 
             
	;;#ASMEND
	;;#ASMSTART
	
             v_fmac_f32 v29, v77, v73 
             
	;;#ASMEND
	;;#ASMSTART
	
             v_fmac_f32 v30, v77, v74 
             
	;;#ASMEND
	;;#ASMSTART
	
             v_fmac_f32 v31, v77, v75 
             
	;;#ASMEND
	;;#ASMSTART
	
             v_fmac_f32 v48, v78, v72 
             
	;;#ASMEND
	;;#ASMSTART
	
             v_fmac_f32 v49, v78, v73 
             
	;;#ASMEND
	;;#ASMSTART
	
             v_fmac_f32 v50, v78, v74 
             
	;;#ASMEND
	;;#ASMSTART
	
             v_fmac_f32 v51, v78, v75 
             
	;;#ASMEND
	;;#ASMSTART
	
             v_fmac_f32 v56, v79, v72 
             
	;;#ASMEND
	;;#ASMSTART
	
             v_fmac_f32 v57, v79, v73 
             
	;;#ASMEND
	;;#ASMSTART
	
             v_fmac_f32 v58, v79, v74 
             
	;;#ASMEND
	;;#ASMSTART
	
             v_fmac_f32 v59, v79, v75 
             
	;;#ASMEND
	ds_read_b128 v[72:75], v87 offset:17920
	;;#ASMSTART
	
             v_fmac_f32 v8, v76, v64 
             
	;;#ASMEND
	;;#ASMSTART
	
             v_fmac_f32 v9, v76, v65 
             
	;;#ASMEND
	;; [unrolled: 5-line block ×16, first 2 shown]
	ds_read_b128 v[64:67], v87 offset:18176
	ds_read_b128 v[76:79], v86 offset:1792
	s_waitcnt lgkmcnt(2)
	;;#ASMSTART
	
             v_fmac_f32 v0, v68, v72 
             
	;;#ASMEND
	;;#ASMSTART
	
             v_fmac_f32 v1, v68, v73 
             
	;;#ASMEND
	;; [unrolled: 5-line block ×16, first 2 shown]
	s_waitcnt lgkmcnt(1)
	;;#ASMSTART
	
             v_fmac_f32 v16, v68, v64 
             
	;;#ASMEND
	;;#ASMSTART
	
             v_fmac_f32 v17, v68, v65 
             
	;;#ASMEND
	;; [unrolled: 5-line block ×16, first 2 shown]
	ds_read_b128 v[68:71], v86 offset:2048
	s_waitcnt lgkmcnt(1)
	;;#ASMSTART
	
             v_fmac_f32 v4, v76, v72 
             
	;;#ASMEND
	;;#ASMSTART
	
             v_fmac_f32 v5, v76, v73 
             
	;;#ASMEND
	;; [unrolled: 5-line block ×16, first 2 shown]
	ds_read_b128 v[72:75], v87 offset:18432
	;;#ASMSTART
	
             v_fmac_f32 v8, v76, v64 
             
	;;#ASMEND
	;;#ASMSTART
	
             v_fmac_f32 v9, v76, v65 
             
	;;#ASMEND
	;; [unrolled: 5-line block ×16, first 2 shown]
	ds_read_b128 v[64:67], v87 offset:18688
	ds_read_b128 v[76:79], v86 offset:2304
	s_waitcnt lgkmcnt(2)
	;;#ASMSTART
	
             v_fmac_f32 v0, v68, v72 
             
	;;#ASMEND
	;;#ASMSTART
	
             v_fmac_f32 v1, v68, v73 
             
	;;#ASMEND
	;; [unrolled: 5-line block ×16, first 2 shown]
	s_waitcnt lgkmcnt(1)
	;;#ASMSTART
	
             v_fmac_f32 v16, v68, v64 
             
	;;#ASMEND
	;;#ASMSTART
	
             v_fmac_f32 v17, v68, v65 
             
	;;#ASMEND
	;; [unrolled: 5-line block ×16, first 2 shown]
	ds_read_b128 v[68:71], v86 offset:2560
	s_waitcnt lgkmcnt(1)
	;;#ASMSTART
	
             v_fmac_f32 v4, v76, v72 
             
	;;#ASMEND
	;;#ASMSTART
	
             v_fmac_f32 v5, v76, v73 
             
	;;#ASMEND
	;;#ASMSTART
	
             v_fmac_f32 v6, v76, v74 
             
	;;#ASMEND
	;;#ASMSTART
	
             v_fmac_f32 v7, v76, v75 
             
	;;#ASMEND
	;;#ASMSTART
	
             v_fmac_f32 v28, v77, v72 
             
	;;#ASMEND
	;;#ASMSTART
	
             v_fmac_f32 v29, v77, v73 
             
	;;#ASMEND
	;;#ASMSTART
	
             v_fmac_f32 v30, v77, v74 
             
	;;#ASMEND
	;;#ASMSTART
	
             v_fmac_f32 v31, v77, v75 
             
	;;#ASMEND
	;;#ASMSTART
	
             v_fmac_f32 v48, v78, v72 
             
	;;#ASMEND
	;;#ASMSTART
	
             v_fmac_f32 v49, v78, v73 
             
	;;#ASMEND
	;;#ASMSTART
	
             v_fmac_f32 v50, v78, v74 
             
	;;#ASMEND
	;;#ASMSTART
	
             v_fmac_f32 v51, v78, v75 
             
	;;#ASMEND
	;;#ASMSTART
	
             v_fmac_f32 v56, v79, v72 
             
	;;#ASMEND
	;;#ASMSTART
	
             v_fmac_f32 v57, v79, v73 
             
	;;#ASMEND
	;;#ASMSTART
	
             v_fmac_f32 v58, v79, v74 
             
	;;#ASMEND
	;;#ASMSTART
	
             v_fmac_f32 v59, v79, v75 
             
	;;#ASMEND
	ds_read_b128 v[72:75], v87 offset:18944
	;;#ASMSTART
	
             v_fmac_f32 v8, v76, v64 
             
	;;#ASMEND
	;;#ASMSTART
	
             v_fmac_f32 v9, v76, v65 
             
	;;#ASMEND
	;; [unrolled: 5-line block ×16, first 2 shown]
	ds_read_b128 v[64:67], v87 offset:19200
	ds_read_b128 v[76:79], v86 offset:2816
	s_waitcnt lgkmcnt(2)
	;;#ASMSTART
	
             v_fmac_f32 v0, v68, v72 
             
	;;#ASMEND
	;;#ASMSTART
	
             v_fmac_f32 v1, v68, v73 
             
	;;#ASMEND
	;; [unrolled: 5-line block ×16, first 2 shown]
	s_waitcnt lgkmcnt(1)
	;;#ASMSTART
	
             v_fmac_f32 v16, v68, v64 
             
	;;#ASMEND
	;;#ASMSTART
	
             v_fmac_f32 v17, v68, v65 
             
	;;#ASMEND
	;; [unrolled: 5-line block ×16, first 2 shown]
	ds_read_b128 v[68:71], v86 offset:3072
	s_waitcnt lgkmcnt(1)
	;;#ASMSTART
	
             v_fmac_f32 v4, v76, v72 
             
	;;#ASMEND
	;;#ASMSTART
	
             v_fmac_f32 v5, v76, v73 
             
	;;#ASMEND
	;; [unrolled: 5-line block ×16, first 2 shown]
	ds_read_b128 v[72:75], v87 offset:19456
	;;#ASMSTART
	
             v_fmac_f32 v8, v76, v64 
             
	;;#ASMEND
	;;#ASMSTART
	
             v_fmac_f32 v9, v76, v65 
             
	;;#ASMEND
	;; [unrolled: 5-line block ×16, first 2 shown]
	ds_read_b128 v[64:67], v87 offset:19712
	ds_read_b128 v[76:79], v86 offset:3328
	s_waitcnt lgkmcnt(2)
	;;#ASMSTART
	
             v_fmac_f32 v0, v68, v72 
             
	;;#ASMEND
	;;#ASMSTART
	
             v_fmac_f32 v1, v68, v73 
             
	;;#ASMEND
	;; [unrolled: 5-line block ×16, first 2 shown]
	s_waitcnt lgkmcnt(1)
	;;#ASMSTART
	
             v_fmac_f32 v16, v68, v64 
             
	;;#ASMEND
	;;#ASMSTART
	
             v_fmac_f32 v17, v68, v65 
             
	;;#ASMEND
	;; [unrolled: 5-line block ×16, first 2 shown]
	ds_read_b128 v[68:71], v86 offset:3584
	s_waitcnt lgkmcnt(1)
	;;#ASMSTART
	
             v_fmac_f32 v4, v76, v72 
             
	;;#ASMEND
	;;#ASMSTART
	
             v_fmac_f32 v5, v76, v73 
             
	;;#ASMEND
	;; [unrolled: 5-line block ×16, first 2 shown]
	ds_read_b128 v[72:75], v87 offset:19968
	;;#ASMSTART
	
             v_fmac_f32 v8, v76, v64 
             
	;;#ASMEND
	;;#ASMSTART
	
             v_fmac_f32 v9, v76, v65 
             
	;;#ASMEND
	;; [unrolled: 5-line block ×16, first 2 shown]
	ds_read_b128 v[64:67], v87 offset:20224
	ds_read_b128 v[76:79], v86 offset:3840
	s_waitcnt lgkmcnt(2)
	;;#ASMSTART
	
             v_fmac_f32 v0, v68, v72 
             
	;;#ASMEND
	;;#ASMSTART
	
             v_fmac_f32 v1, v68, v73 
             
	;;#ASMEND
	;;#ASMSTART
	
             v_fmac_f32 v2, v68, v74 
             
	;;#ASMEND
	;;#ASMSTART
	
             v_fmac_f32 v3, v68, v75 
             
	;;#ASMEND
	;;#ASMSTART
	
             v_fmac_f32 v12, v69, v72 
             
	;;#ASMEND
	;;#ASMSTART
	
             v_fmac_f32 v13, v69, v73 
             
	;;#ASMEND
	;;#ASMSTART
	
             v_fmac_f32 v14, v69, v74 
             
	;;#ASMEND
	;;#ASMSTART
	
             v_fmac_f32 v15, v69, v75 
             
	;;#ASMEND
	;;#ASMSTART
	
             v_fmac_f32 v24, v70, v72 
             
	;;#ASMEND
	;;#ASMSTART
	
             v_fmac_f32 v25, v70, v73 
             
	;;#ASMEND
	;;#ASMSTART
	
             v_fmac_f32 v26, v70, v74 
             
	;;#ASMEND
	;;#ASMSTART
	
             v_fmac_f32 v27, v70, v75 
             
	;;#ASMEND
	;;#ASMSTART
	
             v_fmac_f32 v20, v71, v72 
             
	;;#ASMEND
	;;#ASMSTART
	
             v_fmac_f32 v21, v71, v73 
             
	;;#ASMEND
	;;#ASMSTART
	
             v_fmac_f32 v22, v71, v74 
             
	;;#ASMEND
	;;#ASMSTART
	
             v_fmac_f32 v23, v71, v75 
             
	;;#ASMEND
	s_waitcnt lgkmcnt(1)
	;;#ASMSTART
	
             v_fmac_f32 v16, v68, v64 
             
	;;#ASMEND
	;;#ASMSTART
	
             v_fmac_f32 v17, v68, v65 
             
	;;#ASMEND
	;; [unrolled: 5-line block ×16, first 2 shown]
	ds_read_b128 v[68:71], v86 offset:4096
	s_waitcnt lgkmcnt(1)
	;;#ASMSTART
	
             v_fmac_f32 v4, v76, v72 
             
	;;#ASMEND
	;;#ASMSTART
	
             v_fmac_f32 v5, v76, v73 
             
	;;#ASMEND
	;; [unrolled: 5-line block ×16, first 2 shown]
	ds_read_b128 v[72:75], v87 offset:20480
	;;#ASMSTART
	
             v_fmac_f32 v8, v76, v64 
             
	;;#ASMEND
	;;#ASMSTART
	
             v_fmac_f32 v9, v76, v65 
             
	;;#ASMEND
	;;#ASMSTART
	
             v_fmac_f32 v10, v76, v66 
             
	;;#ASMEND
	;;#ASMSTART
	
             v_fmac_f32 v11, v76, v67 
             
	;;#ASMEND
	;;#ASMSTART
	
             v_fmac_f32 v36, v77, v64 
             
	;;#ASMEND
	;;#ASMSTART
	
             v_fmac_f32 v37, v77, v65 
             
	;;#ASMEND
	;;#ASMSTART
	
             v_fmac_f32 v38, v77, v66 
             
	;;#ASMEND
	;;#ASMSTART
	
             v_fmac_f32 v39, v77, v67 
             
	;;#ASMEND
	;;#ASMSTART
	
             v_fmac_f32 v52, v78, v64 
             
	;;#ASMEND
	;;#ASMSTART
	
             v_fmac_f32 v53, v78, v65 
             
	;;#ASMEND
	;;#ASMSTART
	
             v_fmac_f32 v54, v78, v66 
             
	;;#ASMEND
	;;#ASMSTART
	
             v_fmac_f32 v55, v78, v67 
             
	;;#ASMEND
	;;#ASMSTART
	
             v_fmac_f32 v60, v79, v64 
             
	;;#ASMEND
	;;#ASMSTART
	
             v_fmac_f32 v61, v79, v65 
             
	;;#ASMEND
	;;#ASMSTART
	
             v_fmac_f32 v62, v79, v66 
             
	;;#ASMEND
	;;#ASMSTART
	
             v_fmac_f32 v63, v79, v67 
             
	;;#ASMEND
	ds_read_b128 v[64:67], v87 offset:20736
	ds_read_b128 v[76:79], v86 offset:4352
	s_waitcnt lgkmcnt(2)
	;;#ASMSTART
	
             v_fmac_f32 v0, v68, v72 
             
	;;#ASMEND
	;;#ASMSTART
	
             v_fmac_f32 v1, v68, v73 
             
	;;#ASMEND
	;; [unrolled: 5-line block ×16, first 2 shown]
	s_waitcnt lgkmcnt(1)
	;;#ASMSTART
	
             v_fmac_f32 v16, v68, v64 
             
	;;#ASMEND
	;;#ASMSTART
	
             v_fmac_f32 v17, v68, v65 
             
	;;#ASMEND
	;; [unrolled: 5-line block ×16, first 2 shown]
	ds_read_b128 v[68:71], v86 offset:4608
	s_waitcnt lgkmcnt(1)
	;;#ASMSTART
	
             v_fmac_f32 v4, v76, v72 
             
	;;#ASMEND
	;;#ASMSTART
	
             v_fmac_f32 v5, v76, v73 
             
	;;#ASMEND
	;; [unrolled: 5-line block ×16, first 2 shown]
	ds_read_b128 v[72:75], v87 offset:20992
	;;#ASMSTART
	
             v_fmac_f32 v8, v76, v64 
             
	;;#ASMEND
	;;#ASMSTART
	
             v_fmac_f32 v9, v76, v65 
             
	;;#ASMEND
	;; [unrolled: 5-line block ×16, first 2 shown]
	ds_read_b128 v[64:67], v87 offset:21248
	ds_read_b128 v[76:79], v86 offset:4864
	s_waitcnt lgkmcnt(2)
	;;#ASMSTART
	
             v_fmac_f32 v0, v68, v72 
             
	;;#ASMEND
	;;#ASMSTART
	
             v_fmac_f32 v1, v68, v73 
             
	;;#ASMEND
	;; [unrolled: 5-line block ×16, first 2 shown]
	s_waitcnt lgkmcnt(1)
	;;#ASMSTART
	
             v_fmac_f32 v16, v68, v64 
             
	;;#ASMEND
	;;#ASMSTART
	
             v_fmac_f32 v17, v68, v65 
             
	;;#ASMEND
	;; [unrolled: 5-line block ×16, first 2 shown]
	ds_read_b128 v[68:71], v86 offset:5120
	s_waitcnt lgkmcnt(1)
	;;#ASMSTART
	
             v_fmac_f32 v4, v76, v72 
             
	;;#ASMEND
	;;#ASMSTART
	
             v_fmac_f32 v5, v76, v73 
             
	;;#ASMEND
	;; [unrolled: 5-line block ×16, first 2 shown]
	ds_read_b128 v[72:75], v87 offset:21504
	;;#ASMSTART
	
             v_fmac_f32 v8, v76, v64 
             
	;;#ASMEND
	;;#ASMSTART
	
             v_fmac_f32 v9, v76, v65 
             
	;;#ASMEND
	;; [unrolled: 5-line block ×16, first 2 shown]
	ds_read_b128 v[64:67], v87 offset:21760
	ds_read_b128 v[76:79], v86 offset:5376
	s_waitcnt lgkmcnt(2)
	;;#ASMSTART
	
             v_fmac_f32 v0, v68, v72 
             
	;;#ASMEND
	;;#ASMSTART
	
             v_fmac_f32 v1, v68, v73 
             
	;;#ASMEND
	;; [unrolled: 5-line block ×16, first 2 shown]
	s_waitcnt lgkmcnt(1)
	;;#ASMSTART
	
             v_fmac_f32 v16, v68, v64 
             
	;;#ASMEND
	;;#ASMSTART
	
             v_fmac_f32 v17, v68, v65 
             
	;;#ASMEND
	;; [unrolled: 5-line block ×16, first 2 shown]
	ds_read_b128 v[68:71], v86 offset:5632
	s_waitcnt lgkmcnt(1)
	;;#ASMSTART
	
             v_fmac_f32 v4, v76, v72 
             
	;;#ASMEND
	;;#ASMSTART
	
             v_fmac_f32 v5, v76, v73 
             
	;;#ASMEND
	;; [unrolled: 5-line block ×16, first 2 shown]
	ds_read_b128 v[72:75], v87 offset:22016
	;;#ASMSTART
	
             v_fmac_f32 v8, v76, v64 
             
	;;#ASMEND
	;;#ASMSTART
	
             v_fmac_f32 v9, v76, v65 
             
	;;#ASMEND
	;; [unrolled: 5-line block ×16, first 2 shown]
	ds_read_b128 v[64:67], v87 offset:22272
	ds_read_b128 v[76:79], v86 offset:5888
	s_waitcnt lgkmcnt(2)
	;;#ASMSTART
	
             v_fmac_f32 v0, v68, v72 
             
	;;#ASMEND
	;;#ASMSTART
	
             v_fmac_f32 v1, v68, v73 
             
	;;#ASMEND
	;;#ASMSTART
	
             v_fmac_f32 v2, v68, v74 
             
	;;#ASMEND
	;;#ASMSTART
	
             v_fmac_f32 v3, v68, v75 
             
	;;#ASMEND
	;;#ASMSTART
	
             v_fmac_f32 v12, v69, v72 
             
	;;#ASMEND
	;;#ASMSTART
	
             v_fmac_f32 v13, v69, v73 
             
	;;#ASMEND
	;;#ASMSTART
	
             v_fmac_f32 v14, v69, v74 
             
	;;#ASMEND
	;;#ASMSTART
	
             v_fmac_f32 v15, v69, v75 
             
	;;#ASMEND
	;;#ASMSTART
	
             v_fmac_f32 v24, v70, v72 
             
	;;#ASMEND
	;;#ASMSTART
	
             v_fmac_f32 v25, v70, v73 
             
	;;#ASMEND
	;;#ASMSTART
	
             v_fmac_f32 v26, v70, v74 
             
	;;#ASMEND
	;;#ASMSTART
	
             v_fmac_f32 v27, v70, v75 
             
	;;#ASMEND
	;;#ASMSTART
	
             v_fmac_f32 v20, v71, v72 
             
	;;#ASMEND
	;;#ASMSTART
	
             v_fmac_f32 v21, v71, v73 
             
	;;#ASMEND
	;;#ASMSTART
	
             v_fmac_f32 v22, v71, v74 
             
	;;#ASMEND
	;;#ASMSTART
	
             v_fmac_f32 v23, v71, v75 
             
	;;#ASMEND
	s_waitcnt lgkmcnt(1)
	;;#ASMSTART
	
             v_fmac_f32 v16, v68, v64 
             
	;;#ASMEND
	;;#ASMSTART
	
             v_fmac_f32 v17, v68, v65 
             
	;;#ASMEND
	;; [unrolled: 5-line block ×16, first 2 shown]
	ds_read_b128 v[68:71], v86 offset:6144
	s_waitcnt lgkmcnt(1)
	;;#ASMSTART
	
             v_fmac_f32 v4, v76, v72 
             
	;;#ASMEND
	;;#ASMSTART
	
             v_fmac_f32 v5, v76, v73 
             
	;;#ASMEND
	;; [unrolled: 5-line block ×16, first 2 shown]
	ds_read_b128 v[72:75], v87 offset:22528
	;;#ASMSTART
	
             v_fmac_f32 v8, v76, v64 
             
	;;#ASMEND
	;;#ASMSTART
	
             v_fmac_f32 v9, v76, v65 
             
	;;#ASMEND
	;; [unrolled: 5-line block ×16, first 2 shown]
	ds_read_b128 v[64:67], v87 offset:22784
	ds_read_b128 v[76:79], v86 offset:6400
	s_waitcnt lgkmcnt(2)
	;;#ASMSTART
	
             v_fmac_f32 v0, v68, v72 
             
	;;#ASMEND
	;;#ASMSTART
	
             v_fmac_f32 v1, v68, v73 
             
	;;#ASMEND
	;; [unrolled: 5-line block ×16, first 2 shown]
	s_waitcnt lgkmcnt(1)
	;;#ASMSTART
	
             v_fmac_f32 v16, v68, v64 
             
	;;#ASMEND
	;;#ASMSTART
	
             v_fmac_f32 v17, v68, v65 
             
	;;#ASMEND
	;; [unrolled: 5-line block ×16, first 2 shown]
	ds_read_b128 v[68:71], v86 offset:6656
	s_waitcnt lgkmcnt(1)
	;;#ASMSTART
	
             v_fmac_f32 v4, v76, v72 
             
	;;#ASMEND
	;;#ASMSTART
	
             v_fmac_f32 v5, v76, v73 
             
	;;#ASMEND
	;; [unrolled: 5-line block ×16, first 2 shown]
	ds_read_b128 v[72:75], v87 offset:23040
	;;#ASMSTART
	
             v_fmac_f32 v8, v76, v64 
             
	;;#ASMEND
	;;#ASMSTART
	
             v_fmac_f32 v9, v76, v65 
             
	;;#ASMEND
	;; [unrolled: 5-line block ×16, first 2 shown]
	ds_read_b128 v[64:67], v87 offset:23296
	ds_read_b128 v[76:79], v86 offset:6912
	s_waitcnt lgkmcnt(2)
	;;#ASMSTART
	
             v_fmac_f32 v0, v68, v72 
             
	;;#ASMEND
	;;#ASMSTART
	
             v_fmac_f32 v1, v68, v73 
             
	;;#ASMEND
	;; [unrolled: 5-line block ×16, first 2 shown]
	s_waitcnt lgkmcnt(1)
	;;#ASMSTART
	
             v_fmac_f32 v16, v68, v64 
             
	;;#ASMEND
	;;#ASMSTART
	
             v_fmac_f32 v17, v68, v65 
             
	;;#ASMEND
	;;#ASMSTART
	
             v_fmac_f32 v18, v68, v66 
             
	;;#ASMEND
	;;#ASMSTART
	
             v_fmac_f32 v19, v68, v67 
             
	;;#ASMEND
	;;#ASMSTART
	
             v_fmac_f32 v40, v69, v64 
             
	;;#ASMEND
	;;#ASMSTART
	
             v_fmac_f32 v41, v69, v65 
             
	;;#ASMEND
	;;#ASMSTART
	
             v_fmac_f32 v42, v69, v66 
             
	;;#ASMEND
	;;#ASMSTART
	
             v_fmac_f32 v43, v69, v67 
             
	;;#ASMEND
	;;#ASMSTART
	
             v_fmac_f32 v32, v70, v64 
             
	;;#ASMEND
	;;#ASMSTART
	
             v_fmac_f32 v33, v70, v65 
             
	;;#ASMEND
	;;#ASMSTART
	
             v_fmac_f32 v34, v70, v66 
             
	;;#ASMEND
	;;#ASMSTART
	
             v_fmac_f32 v35, v70, v67 
             
	;;#ASMEND
	;;#ASMSTART
	
             v_fmac_f32 v44, v71, v64 
             
	;;#ASMEND
	;;#ASMSTART
	
             v_fmac_f32 v45, v71, v65 
             
	;;#ASMEND
	;;#ASMSTART
	
             v_fmac_f32 v46, v71, v66 
             
	;;#ASMEND
	;;#ASMSTART
	
             v_fmac_f32 v47, v71, v67 
             
	;;#ASMEND
	ds_read_b128 v[68:71], v86 offset:7168
	s_waitcnt lgkmcnt(1)
	;;#ASMSTART
	
             v_fmac_f32 v4, v76, v72 
             
	;;#ASMEND
	;;#ASMSTART
	
             v_fmac_f32 v5, v76, v73 
             
	;;#ASMEND
	;; [unrolled: 5-line block ×16, first 2 shown]
	ds_read_b128 v[72:75], v87 offset:23552
	;;#ASMSTART
	
             v_fmac_f32 v8, v76, v64 
             
	;;#ASMEND
	;;#ASMSTART
	
             v_fmac_f32 v9, v76, v65 
             
	;;#ASMEND
	;; [unrolled: 5-line block ×16, first 2 shown]
	ds_read_b128 v[64:67], v87 offset:23808
	ds_read_b128 v[80:83], v86 offset:7424
	s_waitcnt lgkmcnt(2)
	;;#ASMSTART
	
             v_fmac_f32 v0, v68, v72 
             
	;;#ASMEND
	;;#ASMSTART
	
             v_fmac_f32 v1, v68, v73 
             
	;;#ASMEND
	;; [unrolled: 5-line block ×16, first 2 shown]
	s_waitcnt lgkmcnt(1)
	;;#ASMSTART
	
             v_fmac_f32 v16, v68, v64 
             
	;;#ASMEND
	;;#ASMSTART
	
             v_fmac_f32 v17, v68, v65 
             
	;;#ASMEND
	;; [unrolled: 5-line block ×16, first 2 shown]
	ds_read_b128 v[76:79], v86 offset:7680
	s_waitcnt lgkmcnt(1)
	;;#ASMSTART
	
             v_fmac_f32 v4, v80, v72 
             
	;;#ASMEND
	;;#ASMSTART
	
             v_fmac_f32 v5, v80, v73 
             
	;;#ASMEND
	;; [unrolled: 5-line block ×16, first 2 shown]
	ds_read_b128 v[72:75], v87 offset:24064
	;;#ASMSTART
	
             v_fmac_f32 v8, v80, v64 
             
	;;#ASMEND
	;;#ASMSTART
	
             v_fmac_f32 v9, v80, v65 
             
	;;#ASMEND
	;; [unrolled: 5-line block ×16, first 2 shown]
	ds_read_b128 v[64:67], v87 offset:24320
	ds_read_b128 v[68:71], v86 offset:7936
	s_waitcnt lgkmcnt(2)
	;;#ASMSTART
	
             v_fmac_f32 v0, v76, v72 
             
	;;#ASMEND
	;;#ASMSTART
	
             v_fmac_f32 v1, v76, v73 
             
	;;#ASMEND
	;; [unrolled: 5-line block ×16, first 2 shown]
	s_waitcnt lgkmcnt(1)
	;;#ASMSTART
	
             v_fmac_f32 v16, v76, v64 
             
	;;#ASMEND
	;;#ASMSTART
	
             v_fmac_f32 v17, v76, v65 
             
	;;#ASMEND
	;; [unrolled: 5-line block ×16, first 2 shown]
	s_waitcnt lgkmcnt(0)
	;;#ASMSTART
	
             v_fmac_f32 v4, v68, v72 
             
	;;#ASMEND
	;;#ASMSTART
	
             v_fmac_f32 v5, v68, v73 
             
	;;#ASMEND
	;; [unrolled: 5-line block ×29, first 2 shown]
	v_add_u32_e32 v64, s3, v84
	v_mul_lo_u32 v64, v64, s16
	;;#ASMSTART
	
             v_fmac_f32 v61, v71, v65 
             
	;;#ASMEND
	s_lshl_b32 s2, s2, 2
	s_and_b32 s1, s1, 0xffff
	v_add3_u32 v64, s17, v85, v64
	s_mov_b32 s3, 0x20000
	v_lshlrev_b32_e32 v65, 2, v64
	;;#ASMSTART
	
             v_fmac_f32 v62, v71, v66 
             
	;;#ASMEND
	;;#ASMSTART
	
             v_fmac_f32 v63, v71, v67 
             
	;;#ASMEND
	buffer_store_dwordx4 v[0:3], v65, s[0:3], 0 offen
	s_nop 0
	v_add_u32_e32 v0, 64, v64
	v_lshlrev_b32_e32 v1, 2, v0
	v_add_lshl_u32 v0, v0, s16, 2
	buffer_store_dwordx4 v[16:19], v1, s[0:3], 0 offen
	buffer_store_dwordx4 v[40:43], v0, s[0:3], 0 offen
	v_add_u32_e32 v0, s16, v64
	v_lshlrev_b32_e32 v1, 2, v0
	v_add_u32_e32 v0, s16, v0
	buffer_store_dwordx4 v[12:15], v1, s[0:3], 0 offen
	v_lshlrev_b32_e32 v1, 2, v0
	buffer_store_dwordx4 v[24:27], v1, s[0:3], 0 offen
	v_add_u32_e32 v1, 64, v0
	v_lshlrev_b32_e32 v2, 2, v1
	v_add_lshl_u32 v1, v1, s16, 2
	v_add_u32_e32 v0, s16, v0
	buffer_store_dwordx4 v[32:35], v2, s[0:3], 0 offen
	buffer_store_dwordx4 v[44:47], v1, s[0:3], 0 offen
	v_lshlrev_b32_e32 v1, 2, v0
	v_lshl_add_u32 v0, s16, 6, v0
	buffer_store_dwordx4 v[20:23], v1, s[0:3], 0 offen
	v_lshlrev_b32_e32 v1, 2, v0
	v_add_u32_e32 v0, 64, v0
	buffer_store_dwordx4 v[56:59], v1, s[0:3], 0 offen
	v_lshlrev_b32_e32 v1, 2, v0
	v_subrev_u32_e32 v0, s16, v0
	buffer_store_dwordx4 v[60:63], v1, s[0:3], 0 offen
	v_lshlrev_b32_e32 v1, 2, v0
	v_subrev_u32_e32 v0, 64, v0
	buffer_store_dwordx4 v[52:55], v1, s[0:3], 0 offen
	v_lshlrev_b32_e32 v1, 2, v0
	v_subrev_u32_e32 v0, s16, v0
	buffer_store_dwordx4 v[48:51], v1, s[0:3], 0 offen
	v_lshlrev_b32_e32 v1, 2, v0
	v_add_u32_e32 v0, 64, v0
	buffer_store_dwordx4 v[28:31], v1, s[0:3], 0 offen
	v_lshlrev_b32_e32 v1, 2, v0
	v_subrev_u32_e32 v0, s16, v0
	v_lshlrev_b32_e32 v0, 2, v0
	buffer_store_dwordx4 v[36:39], v1, s[0:3], 0 offen
	buffer_store_dwordx4 v[8:11], v0, s[0:3], 0 offen
	v_add_u32_e32 v0, 0xffffff00, v0
	buffer_store_dwordx4 v[4:7], v0, s[0:3], 0 offen
	s_endpgm
	.section	.rodata,"a",@progbits
	.p2align	6, 0x0
	.amdhsa_kernel _ZN2ck19kernel_gemm_dl_v1r3INS_28GridwiseGemmDl_km_kn_mn_v1r3ILi256EfffLNS_25InMemoryDataOperationEnumE0ENS_16TensorDescriptorINS_5TupleIJNS_5EmbedINS4_IJiiEEENS4_IJNS_17integral_constantIiLi1EEEiEEELb0EEENS_7UnMergeINS4_IJiS8_EEELb0EEENS_11PassThroughIiEEEEENS4_IJNS_8SequenceIJLi0EEEENSH_IJLi2EEEENSH_IJLi1EEEEEEENS4_IJNSH_IJLi1ELi2EEEENSH_IJLi3ELi4EEEENSH_IJLi5EEEEEEENSH_IJLi3ELi5ELi4EEEElEENS3_INS4_IJNS5_IS6_SC_Lb0EEESD_SF_EEENS4_IJSI_SK_SJ_EEESP_SQ_lEENS3_INS4_IJSS_SF_SF_EEESU_NS4_IJSM_NSH_IJLi3EEEENSH_IJLi4EEEEEEESN_lEELi128ELi128ELi16ELi1ELi4ELi4ELi1ENSH_IJLi8ELi2EEEES11_NSH_IJLi2ELi1ELi4ELi1EEEENSH_IJLi8ELi1ELi32ELi1EEEENSH_IJLi0ELi3ELi1ELi2EEEES14_NSH_IJLi1ELi1ELi4ELi1EEEES14_S15_S12_S13_S14_S14_S15_S14_S15_NSH_IJLi0ELi1ELi2ELi3ELi4ELi5EEEELi5ELi4EEEffNS3_INS4_IJSA_SD_SF_SF_NSB_INS4_IJiNS7_IiLi128EEEEEELb0EEENSE_IS8_EEEEENS4_IJSI_SJ_SK_SX_SO_SY_EEENS4_IJSM_SN_SO_NSH_IJLi6EEEENSH_IJLi7ELi8EEEENSH_IJLi9EEEEEEENSH_IJLi6ELi7ELi8ELi9EEEElEENS3_INS4_IJSS_SD_SF_SF_S1A_S1B_EEENS4_IJSI_SK_SJ_SX_SO_SY_EEES1H_S1I_lEENS3_INS4_IJSS_SF_SF_NSB_INS4_IJiNS7_IiLi2EEENS7_IiLi64EEEEEELb0EEES1Q_EEENS4_IJSI_SK_SJ_SX_SY_EEENS4_IJSM_SX_SY_NSH_IJLi5ELi6ELi7EEEENSH_IJLi8ELi9ELi10EEEEEEENSH_IJLi5ELi6ELi7ELi8ELi9ELi10EEEElEENS_31BlockToCTileMap_M00_N00_M01_N01ILi128ELi128ES10_Lb0EEELb1ELb0EEEvPKT0_S22_PT1_T2_T3_T4_T5_
		.amdhsa_group_segment_fixed_size 32768
		.amdhsa_private_segment_fixed_size 0
		.amdhsa_kernarg_size 328
		.amdhsa_user_sgpr_count 6
		.amdhsa_user_sgpr_private_segment_buffer 1
		.amdhsa_user_sgpr_dispatch_ptr 0
		.amdhsa_user_sgpr_queue_ptr 0
		.amdhsa_user_sgpr_kernarg_segment_ptr 1
		.amdhsa_user_sgpr_dispatch_id 0
		.amdhsa_user_sgpr_flat_scratch_init 0
		.amdhsa_user_sgpr_private_segment_size 0
		.amdhsa_uses_dynamic_stack 0
		.amdhsa_system_sgpr_private_segment_wavefront_offset 0
		.amdhsa_system_sgpr_workgroup_id_x 1
		.amdhsa_system_sgpr_workgroup_id_y 0
		.amdhsa_system_sgpr_workgroup_id_z 0
		.amdhsa_system_sgpr_workgroup_info 0
		.amdhsa_system_vgpr_workitem_id 0
		.amdhsa_next_free_vgpr 114
		.amdhsa_next_free_sgpr 98
		.amdhsa_reserve_vcc 0
		.amdhsa_reserve_flat_scratch 0
		.amdhsa_float_round_mode_32 0
		.amdhsa_float_round_mode_16_64 0
		.amdhsa_float_denorm_mode_32 3
		.amdhsa_float_denorm_mode_16_64 3
		.amdhsa_dx10_clamp 1
		.amdhsa_ieee_mode 1
		.amdhsa_fp16_overflow 0
		.amdhsa_exception_fp_ieee_invalid_op 0
		.amdhsa_exception_fp_denorm_src 0
		.amdhsa_exception_fp_ieee_div_zero 0
		.amdhsa_exception_fp_ieee_overflow 0
		.amdhsa_exception_fp_ieee_underflow 0
		.amdhsa_exception_fp_ieee_inexact 0
		.amdhsa_exception_int_div_zero 0
	.end_amdhsa_kernel
	.section	.text._ZN2ck19kernel_gemm_dl_v1r3INS_28GridwiseGemmDl_km_kn_mn_v1r3ILi256EfffLNS_25InMemoryDataOperationEnumE0ENS_16TensorDescriptorINS_5TupleIJNS_5EmbedINS4_IJiiEEENS4_IJNS_17integral_constantIiLi1EEEiEEELb0EEENS_7UnMergeINS4_IJiS8_EEELb0EEENS_11PassThroughIiEEEEENS4_IJNS_8SequenceIJLi0EEEENSH_IJLi2EEEENSH_IJLi1EEEEEEENS4_IJNSH_IJLi1ELi2EEEENSH_IJLi3ELi4EEEENSH_IJLi5EEEEEEENSH_IJLi3ELi5ELi4EEEElEENS3_INS4_IJNS5_IS6_SC_Lb0EEESD_SF_EEENS4_IJSI_SK_SJ_EEESP_SQ_lEENS3_INS4_IJSS_SF_SF_EEESU_NS4_IJSM_NSH_IJLi3EEEENSH_IJLi4EEEEEEESN_lEELi128ELi128ELi16ELi1ELi4ELi4ELi1ENSH_IJLi8ELi2EEEES11_NSH_IJLi2ELi1ELi4ELi1EEEENSH_IJLi8ELi1ELi32ELi1EEEENSH_IJLi0ELi3ELi1ELi2EEEES14_NSH_IJLi1ELi1ELi4ELi1EEEES14_S15_S12_S13_S14_S14_S15_S14_S15_NSH_IJLi0ELi1ELi2ELi3ELi4ELi5EEEELi5ELi4EEEffNS3_INS4_IJSA_SD_SF_SF_NSB_INS4_IJiNS7_IiLi128EEEEEELb0EEENSE_IS8_EEEEENS4_IJSI_SJ_SK_SX_SO_SY_EEENS4_IJSM_SN_SO_NSH_IJLi6EEEENSH_IJLi7ELi8EEEENSH_IJLi9EEEEEEENSH_IJLi6ELi7ELi8ELi9EEEElEENS3_INS4_IJSS_SD_SF_SF_S1A_S1B_EEENS4_IJSI_SK_SJ_SX_SO_SY_EEES1H_S1I_lEENS3_INS4_IJSS_SF_SF_NSB_INS4_IJiNS7_IiLi2EEENS7_IiLi64EEEEEELb0EEES1Q_EEENS4_IJSI_SK_SJ_SX_SY_EEENS4_IJSM_SX_SY_NSH_IJLi5ELi6ELi7EEEENSH_IJLi8ELi9ELi10EEEEEEENSH_IJLi5ELi6ELi7ELi8ELi9ELi10EEEElEENS_31BlockToCTileMap_M00_N00_M01_N01ILi128ELi128ES10_Lb0EEELb1ELb0EEEvPKT0_S22_PT1_T2_T3_T4_T5_,"axG",@progbits,_ZN2ck19kernel_gemm_dl_v1r3INS_28GridwiseGemmDl_km_kn_mn_v1r3ILi256EfffLNS_25InMemoryDataOperationEnumE0ENS_16TensorDescriptorINS_5TupleIJNS_5EmbedINS4_IJiiEEENS4_IJNS_17integral_constantIiLi1EEEiEEELb0EEENS_7UnMergeINS4_IJiS8_EEELb0EEENS_11PassThroughIiEEEEENS4_IJNS_8SequenceIJLi0EEEENSH_IJLi2EEEENSH_IJLi1EEEEEEENS4_IJNSH_IJLi1ELi2EEEENSH_IJLi3ELi4EEEENSH_IJLi5EEEEEEENSH_IJLi3ELi5ELi4EEEElEENS3_INS4_IJNS5_IS6_SC_Lb0EEESD_SF_EEENS4_IJSI_SK_SJ_EEESP_SQ_lEENS3_INS4_IJSS_SF_SF_EEESU_NS4_IJSM_NSH_IJLi3EEEENSH_IJLi4EEEEEEESN_lEELi128ELi128ELi16ELi1ELi4ELi4ELi1ENSH_IJLi8ELi2EEEES11_NSH_IJLi2ELi1ELi4ELi1EEEENSH_IJLi8ELi1ELi32ELi1EEEENSH_IJLi0ELi3ELi1ELi2EEEES14_NSH_IJLi1ELi1ELi4ELi1EEEES14_S15_S12_S13_S14_S14_S15_S14_S15_NSH_IJLi0ELi1ELi2ELi3ELi4ELi5EEEELi5ELi4EEEffNS3_INS4_IJSA_SD_SF_SF_NSB_INS4_IJiNS7_IiLi128EEEEEELb0EEENSE_IS8_EEEEENS4_IJSI_SJ_SK_SX_SO_SY_EEENS4_IJSM_SN_SO_NSH_IJLi6EEEENSH_IJLi7ELi8EEEENSH_IJLi9EEEEEEENSH_IJLi6ELi7ELi8ELi9EEEElEENS3_INS4_IJSS_SD_SF_SF_S1A_S1B_EEENS4_IJSI_SK_SJ_SX_SO_SY_EEES1H_S1I_lEENS3_INS4_IJSS_SF_SF_NSB_INS4_IJiNS7_IiLi2EEENS7_IiLi64EEEEEELb0EEES1Q_EEENS4_IJSI_SK_SJ_SX_SY_EEENS4_IJSM_SX_SY_NSH_IJLi5ELi6ELi7EEEENSH_IJLi8ELi9ELi10EEEEEEENSH_IJLi5ELi6ELi7ELi8ELi9ELi10EEEElEENS_31BlockToCTileMap_M00_N00_M01_N01ILi128ELi128ES10_Lb0EEELb1ELb0EEEvPKT0_S22_PT1_T2_T3_T4_T5_,comdat
.Lfunc_end2:
	.size	_ZN2ck19kernel_gemm_dl_v1r3INS_28GridwiseGemmDl_km_kn_mn_v1r3ILi256EfffLNS_25InMemoryDataOperationEnumE0ENS_16TensorDescriptorINS_5TupleIJNS_5EmbedINS4_IJiiEEENS4_IJNS_17integral_constantIiLi1EEEiEEELb0EEENS_7UnMergeINS4_IJiS8_EEELb0EEENS_11PassThroughIiEEEEENS4_IJNS_8SequenceIJLi0EEEENSH_IJLi2EEEENSH_IJLi1EEEEEEENS4_IJNSH_IJLi1ELi2EEEENSH_IJLi3ELi4EEEENSH_IJLi5EEEEEEENSH_IJLi3ELi5ELi4EEEElEENS3_INS4_IJNS5_IS6_SC_Lb0EEESD_SF_EEENS4_IJSI_SK_SJ_EEESP_SQ_lEENS3_INS4_IJSS_SF_SF_EEESU_NS4_IJSM_NSH_IJLi3EEEENSH_IJLi4EEEEEEESN_lEELi128ELi128ELi16ELi1ELi4ELi4ELi1ENSH_IJLi8ELi2EEEES11_NSH_IJLi2ELi1ELi4ELi1EEEENSH_IJLi8ELi1ELi32ELi1EEEENSH_IJLi0ELi3ELi1ELi2EEEES14_NSH_IJLi1ELi1ELi4ELi1EEEES14_S15_S12_S13_S14_S14_S15_S14_S15_NSH_IJLi0ELi1ELi2ELi3ELi4ELi5EEEELi5ELi4EEEffNS3_INS4_IJSA_SD_SF_SF_NSB_INS4_IJiNS7_IiLi128EEEEEELb0EEENSE_IS8_EEEEENS4_IJSI_SJ_SK_SX_SO_SY_EEENS4_IJSM_SN_SO_NSH_IJLi6EEEENSH_IJLi7ELi8EEEENSH_IJLi9EEEEEEENSH_IJLi6ELi7ELi8ELi9EEEElEENS3_INS4_IJSS_SD_SF_SF_S1A_S1B_EEENS4_IJSI_SK_SJ_SX_SO_SY_EEES1H_S1I_lEENS3_INS4_IJSS_SF_SF_NSB_INS4_IJiNS7_IiLi2EEENS7_IiLi64EEEEEELb0EEES1Q_EEENS4_IJSI_SK_SJ_SX_SY_EEENS4_IJSM_SX_SY_NSH_IJLi5ELi6ELi7EEEENSH_IJLi8ELi9ELi10EEEEEEENSH_IJLi5ELi6ELi7ELi8ELi9ELi10EEEElEENS_31BlockToCTileMap_M00_N00_M01_N01ILi128ELi128ES10_Lb0EEELb1ELb0EEEvPKT0_S22_PT1_T2_T3_T4_T5_, .Lfunc_end2-_ZN2ck19kernel_gemm_dl_v1r3INS_28GridwiseGemmDl_km_kn_mn_v1r3ILi256EfffLNS_25InMemoryDataOperationEnumE0ENS_16TensorDescriptorINS_5TupleIJNS_5EmbedINS4_IJiiEEENS4_IJNS_17integral_constantIiLi1EEEiEEELb0EEENS_7UnMergeINS4_IJiS8_EEELb0EEENS_11PassThroughIiEEEEENS4_IJNS_8SequenceIJLi0EEEENSH_IJLi2EEEENSH_IJLi1EEEEEEENS4_IJNSH_IJLi1ELi2EEEENSH_IJLi3ELi4EEEENSH_IJLi5EEEEEEENSH_IJLi3ELi5ELi4EEEElEENS3_INS4_IJNS5_IS6_SC_Lb0EEESD_SF_EEENS4_IJSI_SK_SJ_EEESP_SQ_lEENS3_INS4_IJSS_SF_SF_EEESU_NS4_IJSM_NSH_IJLi3EEEENSH_IJLi4EEEEEEESN_lEELi128ELi128ELi16ELi1ELi4ELi4ELi1ENSH_IJLi8ELi2EEEES11_NSH_IJLi2ELi1ELi4ELi1EEEENSH_IJLi8ELi1ELi32ELi1EEEENSH_IJLi0ELi3ELi1ELi2EEEES14_NSH_IJLi1ELi1ELi4ELi1EEEES14_S15_S12_S13_S14_S14_S15_S14_S15_NSH_IJLi0ELi1ELi2ELi3ELi4ELi5EEEELi5ELi4EEEffNS3_INS4_IJSA_SD_SF_SF_NSB_INS4_IJiNS7_IiLi128EEEEEELb0EEENSE_IS8_EEEEENS4_IJSI_SJ_SK_SX_SO_SY_EEENS4_IJSM_SN_SO_NSH_IJLi6EEEENSH_IJLi7ELi8EEEENSH_IJLi9EEEEEEENSH_IJLi6ELi7ELi8ELi9EEEElEENS3_INS4_IJSS_SD_SF_SF_S1A_S1B_EEENS4_IJSI_SK_SJ_SX_SO_SY_EEES1H_S1I_lEENS3_INS4_IJSS_SF_SF_NSB_INS4_IJiNS7_IiLi2EEENS7_IiLi64EEEEEELb0EEES1Q_EEENS4_IJSI_SK_SJ_SX_SY_EEENS4_IJSM_SX_SY_NSH_IJLi5ELi6ELi7EEEENSH_IJLi8ELi9ELi10EEEEEEENSH_IJLi5ELi6ELi7ELi8ELi9ELi10EEEElEENS_31BlockToCTileMap_M00_N00_M01_N01ILi128ELi128ES10_Lb0EEELb1ELb0EEEvPKT0_S22_PT1_T2_T3_T4_T5_
                                        ; -- End function
	.set _ZN2ck19kernel_gemm_dl_v1r3INS_28GridwiseGemmDl_km_kn_mn_v1r3ILi256EfffLNS_25InMemoryDataOperationEnumE0ENS_16TensorDescriptorINS_5TupleIJNS_5EmbedINS4_IJiiEEENS4_IJNS_17integral_constantIiLi1EEEiEEELb0EEENS_7UnMergeINS4_IJiS8_EEELb0EEENS_11PassThroughIiEEEEENS4_IJNS_8SequenceIJLi0EEEENSH_IJLi2EEEENSH_IJLi1EEEEEEENS4_IJNSH_IJLi1ELi2EEEENSH_IJLi3ELi4EEEENSH_IJLi5EEEEEEENSH_IJLi3ELi5ELi4EEEElEENS3_INS4_IJNS5_IS6_SC_Lb0EEESD_SF_EEENS4_IJSI_SK_SJ_EEESP_SQ_lEENS3_INS4_IJSS_SF_SF_EEESU_NS4_IJSM_NSH_IJLi3EEEENSH_IJLi4EEEEEEESN_lEELi128ELi128ELi16ELi1ELi4ELi4ELi1ENSH_IJLi8ELi2EEEES11_NSH_IJLi2ELi1ELi4ELi1EEEENSH_IJLi8ELi1ELi32ELi1EEEENSH_IJLi0ELi3ELi1ELi2EEEES14_NSH_IJLi1ELi1ELi4ELi1EEEES14_S15_S12_S13_S14_S14_S15_S14_S15_NSH_IJLi0ELi1ELi2ELi3ELi4ELi5EEEELi5ELi4EEEffNS3_INS4_IJSA_SD_SF_SF_NSB_INS4_IJiNS7_IiLi128EEEEEELb0EEENSE_IS8_EEEEENS4_IJSI_SJ_SK_SX_SO_SY_EEENS4_IJSM_SN_SO_NSH_IJLi6EEEENSH_IJLi7ELi8EEEENSH_IJLi9EEEEEEENSH_IJLi6ELi7ELi8ELi9EEEElEENS3_INS4_IJSS_SD_SF_SF_S1A_S1B_EEENS4_IJSI_SK_SJ_SX_SO_SY_EEES1H_S1I_lEENS3_INS4_IJSS_SF_SF_NSB_INS4_IJiNS7_IiLi2EEENS7_IiLi64EEEEEELb0EEES1Q_EEENS4_IJSI_SK_SJ_SX_SY_EEENS4_IJSM_SX_SY_NSH_IJLi5ELi6ELi7EEEENSH_IJLi8ELi9ELi10EEEEEEENSH_IJLi5ELi6ELi7ELi8ELi9ELi10EEEElEENS_31BlockToCTileMap_M00_N00_M01_N01ILi128ELi128ES10_Lb0EEELb1ELb0EEEvPKT0_S22_PT1_T2_T3_T4_T5_.num_vgpr, 114
	.set _ZN2ck19kernel_gemm_dl_v1r3INS_28GridwiseGemmDl_km_kn_mn_v1r3ILi256EfffLNS_25InMemoryDataOperationEnumE0ENS_16TensorDescriptorINS_5TupleIJNS_5EmbedINS4_IJiiEEENS4_IJNS_17integral_constantIiLi1EEEiEEELb0EEENS_7UnMergeINS4_IJiS8_EEELb0EEENS_11PassThroughIiEEEEENS4_IJNS_8SequenceIJLi0EEEENSH_IJLi2EEEENSH_IJLi1EEEEEEENS4_IJNSH_IJLi1ELi2EEEENSH_IJLi3ELi4EEEENSH_IJLi5EEEEEEENSH_IJLi3ELi5ELi4EEEElEENS3_INS4_IJNS5_IS6_SC_Lb0EEESD_SF_EEENS4_IJSI_SK_SJ_EEESP_SQ_lEENS3_INS4_IJSS_SF_SF_EEESU_NS4_IJSM_NSH_IJLi3EEEENSH_IJLi4EEEEEEESN_lEELi128ELi128ELi16ELi1ELi4ELi4ELi1ENSH_IJLi8ELi2EEEES11_NSH_IJLi2ELi1ELi4ELi1EEEENSH_IJLi8ELi1ELi32ELi1EEEENSH_IJLi0ELi3ELi1ELi2EEEES14_NSH_IJLi1ELi1ELi4ELi1EEEES14_S15_S12_S13_S14_S14_S15_S14_S15_NSH_IJLi0ELi1ELi2ELi3ELi4ELi5EEEELi5ELi4EEEffNS3_INS4_IJSA_SD_SF_SF_NSB_INS4_IJiNS7_IiLi128EEEEEELb0EEENSE_IS8_EEEEENS4_IJSI_SJ_SK_SX_SO_SY_EEENS4_IJSM_SN_SO_NSH_IJLi6EEEENSH_IJLi7ELi8EEEENSH_IJLi9EEEEEEENSH_IJLi6ELi7ELi8ELi9EEEElEENS3_INS4_IJSS_SD_SF_SF_S1A_S1B_EEENS4_IJSI_SK_SJ_SX_SO_SY_EEES1H_S1I_lEENS3_INS4_IJSS_SF_SF_NSB_INS4_IJiNS7_IiLi2EEENS7_IiLi64EEEEEELb0EEES1Q_EEENS4_IJSI_SK_SJ_SX_SY_EEENS4_IJSM_SX_SY_NSH_IJLi5ELi6ELi7EEEENSH_IJLi8ELi9ELi10EEEEEEENSH_IJLi5ELi6ELi7ELi8ELi9ELi10EEEElEENS_31BlockToCTileMap_M00_N00_M01_N01ILi128ELi128ES10_Lb0EEELb1ELb0EEEvPKT0_S22_PT1_T2_T3_T4_T5_.num_agpr, 0
	.set _ZN2ck19kernel_gemm_dl_v1r3INS_28GridwiseGemmDl_km_kn_mn_v1r3ILi256EfffLNS_25InMemoryDataOperationEnumE0ENS_16TensorDescriptorINS_5TupleIJNS_5EmbedINS4_IJiiEEENS4_IJNS_17integral_constantIiLi1EEEiEEELb0EEENS_7UnMergeINS4_IJiS8_EEELb0EEENS_11PassThroughIiEEEEENS4_IJNS_8SequenceIJLi0EEEENSH_IJLi2EEEENSH_IJLi1EEEEEEENS4_IJNSH_IJLi1ELi2EEEENSH_IJLi3ELi4EEEENSH_IJLi5EEEEEEENSH_IJLi3ELi5ELi4EEEElEENS3_INS4_IJNS5_IS6_SC_Lb0EEESD_SF_EEENS4_IJSI_SK_SJ_EEESP_SQ_lEENS3_INS4_IJSS_SF_SF_EEESU_NS4_IJSM_NSH_IJLi3EEEENSH_IJLi4EEEEEEESN_lEELi128ELi128ELi16ELi1ELi4ELi4ELi1ENSH_IJLi8ELi2EEEES11_NSH_IJLi2ELi1ELi4ELi1EEEENSH_IJLi8ELi1ELi32ELi1EEEENSH_IJLi0ELi3ELi1ELi2EEEES14_NSH_IJLi1ELi1ELi4ELi1EEEES14_S15_S12_S13_S14_S14_S15_S14_S15_NSH_IJLi0ELi1ELi2ELi3ELi4ELi5EEEELi5ELi4EEEffNS3_INS4_IJSA_SD_SF_SF_NSB_INS4_IJiNS7_IiLi128EEEEEELb0EEENSE_IS8_EEEEENS4_IJSI_SJ_SK_SX_SO_SY_EEENS4_IJSM_SN_SO_NSH_IJLi6EEEENSH_IJLi7ELi8EEEENSH_IJLi9EEEEEEENSH_IJLi6ELi7ELi8ELi9EEEElEENS3_INS4_IJSS_SD_SF_SF_S1A_S1B_EEENS4_IJSI_SK_SJ_SX_SO_SY_EEES1H_S1I_lEENS3_INS4_IJSS_SF_SF_NSB_INS4_IJiNS7_IiLi2EEENS7_IiLi64EEEEEELb0EEES1Q_EEENS4_IJSI_SK_SJ_SX_SY_EEENS4_IJSM_SX_SY_NSH_IJLi5ELi6ELi7EEEENSH_IJLi8ELi9ELi10EEEEEEENSH_IJLi5ELi6ELi7ELi8ELi9ELi10EEEElEENS_31BlockToCTileMap_M00_N00_M01_N01ILi128ELi128ES10_Lb0EEELb1ELb0EEEvPKT0_S22_PT1_T2_T3_T4_T5_.numbered_sgpr, 31
	.set _ZN2ck19kernel_gemm_dl_v1r3INS_28GridwiseGemmDl_km_kn_mn_v1r3ILi256EfffLNS_25InMemoryDataOperationEnumE0ENS_16TensorDescriptorINS_5TupleIJNS_5EmbedINS4_IJiiEEENS4_IJNS_17integral_constantIiLi1EEEiEEELb0EEENS_7UnMergeINS4_IJiS8_EEELb0EEENS_11PassThroughIiEEEEENS4_IJNS_8SequenceIJLi0EEEENSH_IJLi2EEEENSH_IJLi1EEEEEEENS4_IJNSH_IJLi1ELi2EEEENSH_IJLi3ELi4EEEENSH_IJLi5EEEEEEENSH_IJLi3ELi5ELi4EEEElEENS3_INS4_IJNS5_IS6_SC_Lb0EEESD_SF_EEENS4_IJSI_SK_SJ_EEESP_SQ_lEENS3_INS4_IJSS_SF_SF_EEESU_NS4_IJSM_NSH_IJLi3EEEENSH_IJLi4EEEEEEESN_lEELi128ELi128ELi16ELi1ELi4ELi4ELi1ENSH_IJLi8ELi2EEEES11_NSH_IJLi2ELi1ELi4ELi1EEEENSH_IJLi8ELi1ELi32ELi1EEEENSH_IJLi0ELi3ELi1ELi2EEEES14_NSH_IJLi1ELi1ELi4ELi1EEEES14_S15_S12_S13_S14_S14_S15_S14_S15_NSH_IJLi0ELi1ELi2ELi3ELi4ELi5EEEELi5ELi4EEEffNS3_INS4_IJSA_SD_SF_SF_NSB_INS4_IJiNS7_IiLi128EEEEEELb0EEENSE_IS8_EEEEENS4_IJSI_SJ_SK_SX_SO_SY_EEENS4_IJSM_SN_SO_NSH_IJLi6EEEENSH_IJLi7ELi8EEEENSH_IJLi9EEEEEEENSH_IJLi6ELi7ELi8ELi9EEEElEENS3_INS4_IJSS_SD_SF_SF_S1A_S1B_EEENS4_IJSI_SK_SJ_SX_SO_SY_EEES1H_S1I_lEENS3_INS4_IJSS_SF_SF_NSB_INS4_IJiNS7_IiLi2EEENS7_IiLi64EEEEEELb0EEES1Q_EEENS4_IJSI_SK_SJ_SX_SY_EEENS4_IJSM_SX_SY_NSH_IJLi5ELi6ELi7EEEENSH_IJLi8ELi9ELi10EEEEEEENSH_IJLi5ELi6ELi7ELi8ELi9ELi10EEEElEENS_31BlockToCTileMap_M00_N00_M01_N01ILi128ELi128ES10_Lb0EEELb1ELb0EEEvPKT0_S22_PT1_T2_T3_T4_T5_.num_named_barrier, 0
	.set _ZN2ck19kernel_gemm_dl_v1r3INS_28GridwiseGemmDl_km_kn_mn_v1r3ILi256EfffLNS_25InMemoryDataOperationEnumE0ENS_16TensorDescriptorINS_5TupleIJNS_5EmbedINS4_IJiiEEENS4_IJNS_17integral_constantIiLi1EEEiEEELb0EEENS_7UnMergeINS4_IJiS8_EEELb0EEENS_11PassThroughIiEEEEENS4_IJNS_8SequenceIJLi0EEEENSH_IJLi2EEEENSH_IJLi1EEEEEEENS4_IJNSH_IJLi1ELi2EEEENSH_IJLi3ELi4EEEENSH_IJLi5EEEEEEENSH_IJLi3ELi5ELi4EEEElEENS3_INS4_IJNS5_IS6_SC_Lb0EEESD_SF_EEENS4_IJSI_SK_SJ_EEESP_SQ_lEENS3_INS4_IJSS_SF_SF_EEESU_NS4_IJSM_NSH_IJLi3EEEENSH_IJLi4EEEEEEESN_lEELi128ELi128ELi16ELi1ELi4ELi4ELi1ENSH_IJLi8ELi2EEEES11_NSH_IJLi2ELi1ELi4ELi1EEEENSH_IJLi8ELi1ELi32ELi1EEEENSH_IJLi0ELi3ELi1ELi2EEEES14_NSH_IJLi1ELi1ELi4ELi1EEEES14_S15_S12_S13_S14_S14_S15_S14_S15_NSH_IJLi0ELi1ELi2ELi3ELi4ELi5EEEELi5ELi4EEEffNS3_INS4_IJSA_SD_SF_SF_NSB_INS4_IJiNS7_IiLi128EEEEEELb0EEENSE_IS8_EEEEENS4_IJSI_SJ_SK_SX_SO_SY_EEENS4_IJSM_SN_SO_NSH_IJLi6EEEENSH_IJLi7ELi8EEEENSH_IJLi9EEEEEEENSH_IJLi6ELi7ELi8ELi9EEEElEENS3_INS4_IJSS_SD_SF_SF_S1A_S1B_EEENS4_IJSI_SK_SJ_SX_SO_SY_EEES1H_S1I_lEENS3_INS4_IJSS_SF_SF_NSB_INS4_IJiNS7_IiLi2EEENS7_IiLi64EEEEEELb0EEES1Q_EEENS4_IJSI_SK_SJ_SX_SY_EEENS4_IJSM_SX_SY_NSH_IJLi5ELi6ELi7EEEENSH_IJLi8ELi9ELi10EEEEEEENSH_IJLi5ELi6ELi7ELi8ELi9ELi10EEEElEENS_31BlockToCTileMap_M00_N00_M01_N01ILi128ELi128ES10_Lb0EEELb1ELb0EEEvPKT0_S22_PT1_T2_T3_T4_T5_.private_seg_size, 0
	.set _ZN2ck19kernel_gemm_dl_v1r3INS_28GridwiseGemmDl_km_kn_mn_v1r3ILi256EfffLNS_25InMemoryDataOperationEnumE0ENS_16TensorDescriptorINS_5TupleIJNS_5EmbedINS4_IJiiEEENS4_IJNS_17integral_constantIiLi1EEEiEEELb0EEENS_7UnMergeINS4_IJiS8_EEELb0EEENS_11PassThroughIiEEEEENS4_IJNS_8SequenceIJLi0EEEENSH_IJLi2EEEENSH_IJLi1EEEEEEENS4_IJNSH_IJLi1ELi2EEEENSH_IJLi3ELi4EEEENSH_IJLi5EEEEEEENSH_IJLi3ELi5ELi4EEEElEENS3_INS4_IJNS5_IS6_SC_Lb0EEESD_SF_EEENS4_IJSI_SK_SJ_EEESP_SQ_lEENS3_INS4_IJSS_SF_SF_EEESU_NS4_IJSM_NSH_IJLi3EEEENSH_IJLi4EEEEEEESN_lEELi128ELi128ELi16ELi1ELi4ELi4ELi1ENSH_IJLi8ELi2EEEES11_NSH_IJLi2ELi1ELi4ELi1EEEENSH_IJLi8ELi1ELi32ELi1EEEENSH_IJLi0ELi3ELi1ELi2EEEES14_NSH_IJLi1ELi1ELi4ELi1EEEES14_S15_S12_S13_S14_S14_S15_S14_S15_NSH_IJLi0ELi1ELi2ELi3ELi4ELi5EEEELi5ELi4EEEffNS3_INS4_IJSA_SD_SF_SF_NSB_INS4_IJiNS7_IiLi128EEEEEELb0EEENSE_IS8_EEEEENS4_IJSI_SJ_SK_SX_SO_SY_EEENS4_IJSM_SN_SO_NSH_IJLi6EEEENSH_IJLi7ELi8EEEENSH_IJLi9EEEEEEENSH_IJLi6ELi7ELi8ELi9EEEElEENS3_INS4_IJSS_SD_SF_SF_S1A_S1B_EEENS4_IJSI_SK_SJ_SX_SO_SY_EEES1H_S1I_lEENS3_INS4_IJSS_SF_SF_NSB_INS4_IJiNS7_IiLi2EEENS7_IiLi64EEEEEELb0EEES1Q_EEENS4_IJSI_SK_SJ_SX_SY_EEENS4_IJSM_SX_SY_NSH_IJLi5ELi6ELi7EEEENSH_IJLi8ELi9ELi10EEEEEEENSH_IJLi5ELi6ELi7ELi8ELi9ELi10EEEElEENS_31BlockToCTileMap_M00_N00_M01_N01ILi128ELi128ES10_Lb0EEELb1ELb0EEEvPKT0_S22_PT1_T2_T3_T4_T5_.uses_vcc, 0
	.set _ZN2ck19kernel_gemm_dl_v1r3INS_28GridwiseGemmDl_km_kn_mn_v1r3ILi256EfffLNS_25InMemoryDataOperationEnumE0ENS_16TensorDescriptorINS_5TupleIJNS_5EmbedINS4_IJiiEEENS4_IJNS_17integral_constantIiLi1EEEiEEELb0EEENS_7UnMergeINS4_IJiS8_EEELb0EEENS_11PassThroughIiEEEEENS4_IJNS_8SequenceIJLi0EEEENSH_IJLi2EEEENSH_IJLi1EEEEEEENS4_IJNSH_IJLi1ELi2EEEENSH_IJLi3ELi4EEEENSH_IJLi5EEEEEEENSH_IJLi3ELi5ELi4EEEElEENS3_INS4_IJNS5_IS6_SC_Lb0EEESD_SF_EEENS4_IJSI_SK_SJ_EEESP_SQ_lEENS3_INS4_IJSS_SF_SF_EEESU_NS4_IJSM_NSH_IJLi3EEEENSH_IJLi4EEEEEEESN_lEELi128ELi128ELi16ELi1ELi4ELi4ELi1ENSH_IJLi8ELi2EEEES11_NSH_IJLi2ELi1ELi4ELi1EEEENSH_IJLi8ELi1ELi32ELi1EEEENSH_IJLi0ELi3ELi1ELi2EEEES14_NSH_IJLi1ELi1ELi4ELi1EEEES14_S15_S12_S13_S14_S14_S15_S14_S15_NSH_IJLi0ELi1ELi2ELi3ELi4ELi5EEEELi5ELi4EEEffNS3_INS4_IJSA_SD_SF_SF_NSB_INS4_IJiNS7_IiLi128EEEEEELb0EEENSE_IS8_EEEEENS4_IJSI_SJ_SK_SX_SO_SY_EEENS4_IJSM_SN_SO_NSH_IJLi6EEEENSH_IJLi7ELi8EEEENSH_IJLi9EEEEEEENSH_IJLi6ELi7ELi8ELi9EEEElEENS3_INS4_IJSS_SD_SF_SF_S1A_S1B_EEENS4_IJSI_SK_SJ_SX_SO_SY_EEES1H_S1I_lEENS3_INS4_IJSS_SF_SF_NSB_INS4_IJiNS7_IiLi2EEENS7_IiLi64EEEEEELb0EEES1Q_EEENS4_IJSI_SK_SJ_SX_SY_EEENS4_IJSM_SX_SY_NSH_IJLi5ELi6ELi7EEEENSH_IJLi8ELi9ELi10EEEEEEENSH_IJLi5ELi6ELi7ELi8ELi9ELi10EEEElEENS_31BlockToCTileMap_M00_N00_M01_N01ILi128ELi128ES10_Lb0EEELb1ELb0EEEvPKT0_S22_PT1_T2_T3_T4_T5_.uses_flat_scratch, 0
	.set _ZN2ck19kernel_gemm_dl_v1r3INS_28GridwiseGemmDl_km_kn_mn_v1r3ILi256EfffLNS_25InMemoryDataOperationEnumE0ENS_16TensorDescriptorINS_5TupleIJNS_5EmbedINS4_IJiiEEENS4_IJNS_17integral_constantIiLi1EEEiEEELb0EEENS_7UnMergeINS4_IJiS8_EEELb0EEENS_11PassThroughIiEEEEENS4_IJNS_8SequenceIJLi0EEEENSH_IJLi2EEEENSH_IJLi1EEEEEEENS4_IJNSH_IJLi1ELi2EEEENSH_IJLi3ELi4EEEENSH_IJLi5EEEEEEENSH_IJLi3ELi5ELi4EEEElEENS3_INS4_IJNS5_IS6_SC_Lb0EEESD_SF_EEENS4_IJSI_SK_SJ_EEESP_SQ_lEENS3_INS4_IJSS_SF_SF_EEESU_NS4_IJSM_NSH_IJLi3EEEENSH_IJLi4EEEEEEESN_lEELi128ELi128ELi16ELi1ELi4ELi4ELi1ENSH_IJLi8ELi2EEEES11_NSH_IJLi2ELi1ELi4ELi1EEEENSH_IJLi8ELi1ELi32ELi1EEEENSH_IJLi0ELi3ELi1ELi2EEEES14_NSH_IJLi1ELi1ELi4ELi1EEEES14_S15_S12_S13_S14_S14_S15_S14_S15_NSH_IJLi0ELi1ELi2ELi3ELi4ELi5EEEELi5ELi4EEEffNS3_INS4_IJSA_SD_SF_SF_NSB_INS4_IJiNS7_IiLi128EEEEEELb0EEENSE_IS8_EEEEENS4_IJSI_SJ_SK_SX_SO_SY_EEENS4_IJSM_SN_SO_NSH_IJLi6EEEENSH_IJLi7ELi8EEEENSH_IJLi9EEEEEEENSH_IJLi6ELi7ELi8ELi9EEEElEENS3_INS4_IJSS_SD_SF_SF_S1A_S1B_EEENS4_IJSI_SK_SJ_SX_SO_SY_EEES1H_S1I_lEENS3_INS4_IJSS_SF_SF_NSB_INS4_IJiNS7_IiLi2EEENS7_IiLi64EEEEEELb0EEES1Q_EEENS4_IJSI_SK_SJ_SX_SY_EEENS4_IJSM_SX_SY_NSH_IJLi5ELi6ELi7EEEENSH_IJLi8ELi9ELi10EEEEEEENSH_IJLi5ELi6ELi7ELi8ELi9ELi10EEEElEENS_31BlockToCTileMap_M00_N00_M01_N01ILi128ELi128ES10_Lb0EEELb1ELb0EEEvPKT0_S22_PT1_T2_T3_T4_T5_.has_dyn_sized_stack, 0
	.set _ZN2ck19kernel_gemm_dl_v1r3INS_28GridwiseGemmDl_km_kn_mn_v1r3ILi256EfffLNS_25InMemoryDataOperationEnumE0ENS_16TensorDescriptorINS_5TupleIJNS_5EmbedINS4_IJiiEEENS4_IJNS_17integral_constantIiLi1EEEiEEELb0EEENS_7UnMergeINS4_IJiS8_EEELb0EEENS_11PassThroughIiEEEEENS4_IJNS_8SequenceIJLi0EEEENSH_IJLi2EEEENSH_IJLi1EEEEEEENS4_IJNSH_IJLi1ELi2EEEENSH_IJLi3ELi4EEEENSH_IJLi5EEEEEEENSH_IJLi3ELi5ELi4EEEElEENS3_INS4_IJNS5_IS6_SC_Lb0EEESD_SF_EEENS4_IJSI_SK_SJ_EEESP_SQ_lEENS3_INS4_IJSS_SF_SF_EEESU_NS4_IJSM_NSH_IJLi3EEEENSH_IJLi4EEEEEEESN_lEELi128ELi128ELi16ELi1ELi4ELi4ELi1ENSH_IJLi8ELi2EEEES11_NSH_IJLi2ELi1ELi4ELi1EEEENSH_IJLi8ELi1ELi32ELi1EEEENSH_IJLi0ELi3ELi1ELi2EEEES14_NSH_IJLi1ELi1ELi4ELi1EEEES14_S15_S12_S13_S14_S14_S15_S14_S15_NSH_IJLi0ELi1ELi2ELi3ELi4ELi5EEEELi5ELi4EEEffNS3_INS4_IJSA_SD_SF_SF_NSB_INS4_IJiNS7_IiLi128EEEEEELb0EEENSE_IS8_EEEEENS4_IJSI_SJ_SK_SX_SO_SY_EEENS4_IJSM_SN_SO_NSH_IJLi6EEEENSH_IJLi7ELi8EEEENSH_IJLi9EEEEEEENSH_IJLi6ELi7ELi8ELi9EEEElEENS3_INS4_IJSS_SD_SF_SF_S1A_S1B_EEENS4_IJSI_SK_SJ_SX_SO_SY_EEES1H_S1I_lEENS3_INS4_IJSS_SF_SF_NSB_INS4_IJiNS7_IiLi2EEENS7_IiLi64EEEEEELb0EEES1Q_EEENS4_IJSI_SK_SJ_SX_SY_EEENS4_IJSM_SX_SY_NSH_IJLi5ELi6ELi7EEEENSH_IJLi8ELi9ELi10EEEEEEENSH_IJLi5ELi6ELi7ELi8ELi9ELi10EEEElEENS_31BlockToCTileMap_M00_N00_M01_N01ILi128ELi128ES10_Lb0EEELb1ELb0EEEvPKT0_S22_PT1_T2_T3_T4_T5_.has_recursion, 0
	.set _ZN2ck19kernel_gemm_dl_v1r3INS_28GridwiseGemmDl_km_kn_mn_v1r3ILi256EfffLNS_25InMemoryDataOperationEnumE0ENS_16TensorDescriptorINS_5TupleIJNS_5EmbedINS4_IJiiEEENS4_IJNS_17integral_constantIiLi1EEEiEEELb0EEENS_7UnMergeINS4_IJiS8_EEELb0EEENS_11PassThroughIiEEEEENS4_IJNS_8SequenceIJLi0EEEENSH_IJLi2EEEENSH_IJLi1EEEEEEENS4_IJNSH_IJLi1ELi2EEEENSH_IJLi3ELi4EEEENSH_IJLi5EEEEEEENSH_IJLi3ELi5ELi4EEEElEENS3_INS4_IJNS5_IS6_SC_Lb0EEESD_SF_EEENS4_IJSI_SK_SJ_EEESP_SQ_lEENS3_INS4_IJSS_SF_SF_EEESU_NS4_IJSM_NSH_IJLi3EEEENSH_IJLi4EEEEEEESN_lEELi128ELi128ELi16ELi1ELi4ELi4ELi1ENSH_IJLi8ELi2EEEES11_NSH_IJLi2ELi1ELi4ELi1EEEENSH_IJLi8ELi1ELi32ELi1EEEENSH_IJLi0ELi3ELi1ELi2EEEES14_NSH_IJLi1ELi1ELi4ELi1EEEES14_S15_S12_S13_S14_S14_S15_S14_S15_NSH_IJLi0ELi1ELi2ELi3ELi4ELi5EEEELi5ELi4EEEffNS3_INS4_IJSA_SD_SF_SF_NSB_INS4_IJiNS7_IiLi128EEEEEELb0EEENSE_IS8_EEEEENS4_IJSI_SJ_SK_SX_SO_SY_EEENS4_IJSM_SN_SO_NSH_IJLi6EEEENSH_IJLi7ELi8EEEENSH_IJLi9EEEEEEENSH_IJLi6ELi7ELi8ELi9EEEElEENS3_INS4_IJSS_SD_SF_SF_S1A_S1B_EEENS4_IJSI_SK_SJ_SX_SO_SY_EEES1H_S1I_lEENS3_INS4_IJSS_SF_SF_NSB_INS4_IJiNS7_IiLi2EEENS7_IiLi64EEEEEELb0EEES1Q_EEENS4_IJSI_SK_SJ_SX_SY_EEENS4_IJSM_SX_SY_NSH_IJLi5ELi6ELi7EEEENSH_IJLi8ELi9ELi10EEEEEEENSH_IJLi5ELi6ELi7ELi8ELi9ELi10EEEElEENS_31BlockToCTileMap_M00_N00_M01_N01ILi128ELi128ES10_Lb0EEELb1ELb0EEEvPKT0_S22_PT1_T2_T3_T4_T5_.has_indirect_call, 0
	.section	.AMDGPU.csdata,"",@progbits
; Kernel info:
; codeLenInByte = 28152
; TotalNumSgprs: 35
; NumVgprs: 114
; ScratchSize: 0
; MemoryBound: 0
; FloatMode: 240
; IeeeMode: 1
; LDSByteSize: 32768 bytes/workgroup (compile time only)
; SGPRBlocks: 12
; VGPRBlocks: 28
; NumSGPRsForWavesPerEU: 102
; NumVGPRsForWavesPerEU: 114
; Occupancy: 2
; WaveLimiterHint : 0
; COMPUTE_PGM_RSRC2:SCRATCH_EN: 0
; COMPUTE_PGM_RSRC2:USER_SGPR: 6
; COMPUTE_PGM_RSRC2:TRAP_HANDLER: 0
; COMPUTE_PGM_RSRC2:TGID_X_EN: 1
; COMPUTE_PGM_RSRC2:TGID_Y_EN: 0
; COMPUTE_PGM_RSRC2:TGID_Z_EN: 0
; COMPUTE_PGM_RSRC2:TIDIG_COMP_CNT: 0
	.section	.text._ZN2ck19kernel_gemm_dl_v1r3INS_28GridwiseGemmDl_km_kn_mn_v1r3ILi256EfffLNS_25InMemoryDataOperationEnumE0ENS_16TensorDescriptorINS_5TupleIJNS_5EmbedINS4_IJiiEEENS4_IJNS_17integral_constantIiLi1EEEiEEELb0EEENS_7UnMergeINS4_IJiS8_EEELb0EEENS_11PassThroughIiEEEEENS4_IJNS_8SequenceIJLi0EEEENSH_IJLi2EEEENSH_IJLi1EEEEEEENS4_IJNSH_IJLi1ELi2EEEENSH_IJLi3ELi4EEEENSH_IJLi5EEEEEEENSH_IJLi3ELi5ELi4EEEElEENS3_INS4_IJNS5_IS6_SC_Lb0EEESD_SF_EEENS4_IJSI_SK_SJ_EEESP_SQ_lEENS3_INS4_IJSS_SF_SF_EEESU_NS4_IJSM_NSH_IJLi3EEEENSH_IJLi4EEEEEEESN_lEELi128ELi128ELi16ELi1ELi4ELi4ELi1ENSH_IJLi8ELi2EEEES11_NSH_IJLi2ELi1ELi4ELi1EEEENSH_IJLi8ELi1ELi32ELi1EEEENSH_IJLi0ELi3ELi1ELi2EEEES14_NSH_IJLi1ELi1ELi4ELi1EEEES14_S15_S12_S13_S14_S14_S15_S14_S15_NSH_IJLi0ELi1ELi2ELi3ELi4ELi5EEEELi5ELi4EEEffNS3_INS4_IJSA_SD_SF_SF_NSB_INS4_IJiNS7_IiLi128EEEEEELb0EEENSE_IS8_EEEEENS4_IJSI_SJ_SK_SX_SO_SY_EEENS4_IJSM_SN_SO_NSH_IJLi6EEEENSH_IJLi7ELi8EEEENSH_IJLi9EEEEEEENSH_IJLi6ELi7ELi8ELi9EEEElEENS3_INS4_IJSS_SD_SF_SF_S1A_S1B_EEENS4_IJSI_SK_SJ_SX_SO_SY_EEES1H_S1I_lEENS3_INS4_IJSS_SF_SF_NSB_INS4_IJiNS7_IiLi2EEENS7_IiLi64EEEEEELb0EEES1Q_EEENS4_IJSI_SK_SJ_SX_SY_EEENS4_IJSM_SX_SY_NSH_IJLi5ELi6ELi7EEEENSH_IJLi8ELi9ELi10EEEEEEENSH_IJLi5ELi6ELi7ELi8ELi9ELi10EEEElEENS_31BlockToCTileMap_M00_N00_M01_N01ILi128ELi128ES10_Lb0EEELb0ELb1EEEvPKT0_S22_PT1_T2_T3_T4_T5_,"axG",@progbits,_ZN2ck19kernel_gemm_dl_v1r3INS_28GridwiseGemmDl_km_kn_mn_v1r3ILi256EfffLNS_25InMemoryDataOperationEnumE0ENS_16TensorDescriptorINS_5TupleIJNS_5EmbedINS4_IJiiEEENS4_IJNS_17integral_constantIiLi1EEEiEEELb0EEENS_7UnMergeINS4_IJiS8_EEELb0EEENS_11PassThroughIiEEEEENS4_IJNS_8SequenceIJLi0EEEENSH_IJLi2EEEENSH_IJLi1EEEEEEENS4_IJNSH_IJLi1ELi2EEEENSH_IJLi3ELi4EEEENSH_IJLi5EEEEEEENSH_IJLi3ELi5ELi4EEEElEENS3_INS4_IJNS5_IS6_SC_Lb0EEESD_SF_EEENS4_IJSI_SK_SJ_EEESP_SQ_lEENS3_INS4_IJSS_SF_SF_EEESU_NS4_IJSM_NSH_IJLi3EEEENSH_IJLi4EEEEEEESN_lEELi128ELi128ELi16ELi1ELi4ELi4ELi1ENSH_IJLi8ELi2EEEES11_NSH_IJLi2ELi1ELi4ELi1EEEENSH_IJLi8ELi1ELi32ELi1EEEENSH_IJLi0ELi3ELi1ELi2EEEES14_NSH_IJLi1ELi1ELi4ELi1EEEES14_S15_S12_S13_S14_S14_S15_S14_S15_NSH_IJLi0ELi1ELi2ELi3ELi4ELi5EEEELi5ELi4EEEffNS3_INS4_IJSA_SD_SF_SF_NSB_INS4_IJiNS7_IiLi128EEEEEELb0EEENSE_IS8_EEEEENS4_IJSI_SJ_SK_SX_SO_SY_EEENS4_IJSM_SN_SO_NSH_IJLi6EEEENSH_IJLi7ELi8EEEENSH_IJLi9EEEEEEENSH_IJLi6ELi7ELi8ELi9EEEElEENS3_INS4_IJSS_SD_SF_SF_S1A_S1B_EEENS4_IJSI_SK_SJ_SX_SO_SY_EEES1H_S1I_lEENS3_INS4_IJSS_SF_SF_NSB_INS4_IJiNS7_IiLi2EEENS7_IiLi64EEEEEELb0EEES1Q_EEENS4_IJSI_SK_SJ_SX_SY_EEENS4_IJSM_SX_SY_NSH_IJLi5ELi6ELi7EEEENSH_IJLi8ELi9ELi10EEEEEEENSH_IJLi5ELi6ELi7ELi8ELi9ELi10EEEElEENS_31BlockToCTileMap_M00_N00_M01_N01ILi128ELi128ES10_Lb0EEELb0ELb1EEEvPKT0_S22_PT1_T2_T3_T4_T5_,comdat
	.protected	_ZN2ck19kernel_gemm_dl_v1r3INS_28GridwiseGemmDl_km_kn_mn_v1r3ILi256EfffLNS_25InMemoryDataOperationEnumE0ENS_16TensorDescriptorINS_5TupleIJNS_5EmbedINS4_IJiiEEENS4_IJNS_17integral_constantIiLi1EEEiEEELb0EEENS_7UnMergeINS4_IJiS8_EEELb0EEENS_11PassThroughIiEEEEENS4_IJNS_8SequenceIJLi0EEEENSH_IJLi2EEEENSH_IJLi1EEEEEEENS4_IJNSH_IJLi1ELi2EEEENSH_IJLi3ELi4EEEENSH_IJLi5EEEEEEENSH_IJLi3ELi5ELi4EEEElEENS3_INS4_IJNS5_IS6_SC_Lb0EEESD_SF_EEENS4_IJSI_SK_SJ_EEESP_SQ_lEENS3_INS4_IJSS_SF_SF_EEESU_NS4_IJSM_NSH_IJLi3EEEENSH_IJLi4EEEEEEESN_lEELi128ELi128ELi16ELi1ELi4ELi4ELi1ENSH_IJLi8ELi2EEEES11_NSH_IJLi2ELi1ELi4ELi1EEEENSH_IJLi8ELi1ELi32ELi1EEEENSH_IJLi0ELi3ELi1ELi2EEEES14_NSH_IJLi1ELi1ELi4ELi1EEEES14_S15_S12_S13_S14_S14_S15_S14_S15_NSH_IJLi0ELi1ELi2ELi3ELi4ELi5EEEELi5ELi4EEEffNS3_INS4_IJSA_SD_SF_SF_NSB_INS4_IJiNS7_IiLi128EEEEEELb0EEENSE_IS8_EEEEENS4_IJSI_SJ_SK_SX_SO_SY_EEENS4_IJSM_SN_SO_NSH_IJLi6EEEENSH_IJLi7ELi8EEEENSH_IJLi9EEEEEEENSH_IJLi6ELi7ELi8ELi9EEEElEENS3_INS4_IJSS_SD_SF_SF_S1A_S1B_EEENS4_IJSI_SK_SJ_SX_SO_SY_EEES1H_S1I_lEENS3_INS4_IJSS_SF_SF_NSB_INS4_IJiNS7_IiLi2EEENS7_IiLi64EEEEEELb0EEES1Q_EEENS4_IJSI_SK_SJ_SX_SY_EEENS4_IJSM_SX_SY_NSH_IJLi5ELi6ELi7EEEENSH_IJLi8ELi9ELi10EEEEEEENSH_IJLi5ELi6ELi7ELi8ELi9ELi10EEEElEENS_31BlockToCTileMap_M00_N00_M01_N01ILi128ELi128ES10_Lb0EEELb0ELb1EEEvPKT0_S22_PT1_T2_T3_T4_T5_ ; -- Begin function _ZN2ck19kernel_gemm_dl_v1r3INS_28GridwiseGemmDl_km_kn_mn_v1r3ILi256EfffLNS_25InMemoryDataOperationEnumE0ENS_16TensorDescriptorINS_5TupleIJNS_5EmbedINS4_IJiiEEENS4_IJNS_17integral_constantIiLi1EEEiEEELb0EEENS_7UnMergeINS4_IJiS8_EEELb0EEENS_11PassThroughIiEEEEENS4_IJNS_8SequenceIJLi0EEEENSH_IJLi2EEEENSH_IJLi1EEEEEEENS4_IJNSH_IJLi1ELi2EEEENSH_IJLi3ELi4EEEENSH_IJLi5EEEEEEENSH_IJLi3ELi5ELi4EEEElEENS3_INS4_IJNS5_IS6_SC_Lb0EEESD_SF_EEENS4_IJSI_SK_SJ_EEESP_SQ_lEENS3_INS4_IJSS_SF_SF_EEESU_NS4_IJSM_NSH_IJLi3EEEENSH_IJLi4EEEEEEESN_lEELi128ELi128ELi16ELi1ELi4ELi4ELi1ENSH_IJLi8ELi2EEEES11_NSH_IJLi2ELi1ELi4ELi1EEEENSH_IJLi8ELi1ELi32ELi1EEEENSH_IJLi0ELi3ELi1ELi2EEEES14_NSH_IJLi1ELi1ELi4ELi1EEEES14_S15_S12_S13_S14_S14_S15_S14_S15_NSH_IJLi0ELi1ELi2ELi3ELi4ELi5EEEELi5ELi4EEEffNS3_INS4_IJSA_SD_SF_SF_NSB_INS4_IJiNS7_IiLi128EEEEEELb0EEENSE_IS8_EEEEENS4_IJSI_SJ_SK_SX_SO_SY_EEENS4_IJSM_SN_SO_NSH_IJLi6EEEENSH_IJLi7ELi8EEEENSH_IJLi9EEEEEEENSH_IJLi6ELi7ELi8ELi9EEEElEENS3_INS4_IJSS_SD_SF_SF_S1A_S1B_EEENS4_IJSI_SK_SJ_SX_SO_SY_EEES1H_S1I_lEENS3_INS4_IJSS_SF_SF_NSB_INS4_IJiNS7_IiLi2EEENS7_IiLi64EEEEEELb0EEES1Q_EEENS4_IJSI_SK_SJ_SX_SY_EEENS4_IJSM_SX_SY_NSH_IJLi5ELi6ELi7EEEENSH_IJLi8ELi9ELi10EEEEEEENSH_IJLi5ELi6ELi7ELi8ELi9ELi10EEEElEENS_31BlockToCTileMap_M00_N00_M01_N01ILi128ELi128ES10_Lb0EEELb0ELb1EEEvPKT0_S22_PT1_T2_T3_T4_T5_
	.globl	_ZN2ck19kernel_gemm_dl_v1r3INS_28GridwiseGemmDl_km_kn_mn_v1r3ILi256EfffLNS_25InMemoryDataOperationEnumE0ENS_16TensorDescriptorINS_5TupleIJNS_5EmbedINS4_IJiiEEENS4_IJNS_17integral_constantIiLi1EEEiEEELb0EEENS_7UnMergeINS4_IJiS8_EEELb0EEENS_11PassThroughIiEEEEENS4_IJNS_8SequenceIJLi0EEEENSH_IJLi2EEEENSH_IJLi1EEEEEEENS4_IJNSH_IJLi1ELi2EEEENSH_IJLi3ELi4EEEENSH_IJLi5EEEEEEENSH_IJLi3ELi5ELi4EEEElEENS3_INS4_IJNS5_IS6_SC_Lb0EEESD_SF_EEENS4_IJSI_SK_SJ_EEESP_SQ_lEENS3_INS4_IJSS_SF_SF_EEESU_NS4_IJSM_NSH_IJLi3EEEENSH_IJLi4EEEEEEESN_lEELi128ELi128ELi16ELi1ELi4ELi4ELi1ENSH_IJLi8ELi2EEEES11_NSH_IJLi2ELi1ELi4ELi1EEEENSH_IJLi8ELi1ELi32ELi1EEEENSH_IJLi0ELi3ELi1ELi2EEEES14_NSH_IJLi1ELi1ELi4ELi1EEEES14_S15_S12_S13_S14_S14_S15_S14_S15_NSH_IJLi0ELi1ELi2ELi3ELi4ELi5EEEELi5ELi4EEEffNS3_INS4_IJSA_SD_SF_SF_NSB_INS4_IJiNS7_IiLi128EEEEEELb0EEENSE_IS8_EEEEENS4_IJSI_SJ_SK_SX_SO_SY_EEENS4_IJSM_SN_SO_NSH_IJLi6EEEENSH_IJLi7ELi8EEEENSH_IJLi9EEEEEEENSH_IJLi6ELi7ELi8ELi9EEEElEENS3_INS4_IJSS_SD_SF_SF_S1A_S1B_EEENS4_IJSI_SK_SJ_SX_SO_SY_EEES1H_S1I_lEENS3_INS4_IJSS_SF_SF_NSB_INS4_IJiNS7_IiLi2EEENS7_IiLi64EEEEEELb0EEES1Q_EEENS4_IJSI_SK_SJ_SX_SY_EEENS4_IJSM_SX_SY_NSH_IJLi5ELi6ELi7EEEENSH_IJLi8ELi9ELi10EEEEEEENSH_IJLi5ELi6ELi7ELi8ELi9ELi10EEEElEENS_31BlockToCTileMap_M00_N00_M01_N01ILi128ELi128ES10_Lb0EEELb0ELb1EEEvPKT0_S22_PT1_T2_T3_T4_T5_
	.p2align	8
	.type	_ZN2ck19kernel_gemm_dl_v1r3INS_28GridwiseGemmDl_km_kn_mn_v1r3ILi256EfffLNS_25InMemoryDataOperationEnumE0ENS_16TensorDescriptorINS_5TupleIJNS_5EmbedINS4_IJiiEEENS4_IJNS_17integral_constantIiLi1EEEiEEELb0EEENS_7UnMergeINS4_IJiS8_EEELb0EEENS_11PassThroughIiEEEEENS4_IJNS_8SequenceIJLi0EEEENSH_IJLi2EEEENSH_IJLi1EEEEEEENS4_IJNSH_IJLi1ELi2EEEENSH_IJLi3ELi4EEEENSH_IJLi5EEEEEEENSH_IJLi3ELi5ELi4EEEElEENS3_INS4_IJNS5_IS6_SC_Lb0EEESD_SF_EEENS4_IJSI_SK_SJ_EEESP_SQ_lEENS3_INS4_IJSS_SF_SF_EEESU_NS4_IJSM_NSH_IJLi3EEEENSH_IJLi4EEEEEEESN_lEELi128ELi128ELi16ELi1ELi4ELi4ELi1ENSH_IJLi8ELi2EEEES11_NSH_IJLi2ELi1ELi4ELi1EEEENSH_IJLi8ELi1ELi32ELi1EEEENSH_IJLi0ELi3ELi1ELi2EEEES14_NSH_IJLi1ELi1ELi4ELi1EEEES14_S15_S12_S13_S14_S14_S15_S14_S15_NSH_IJLi0ELi1ELi2ELi3ELi4ELi5EEEELi5ELi4EEEffNS3_INS4_IJSA_SD_SF_SF_NSB_INS4_IJiNS7_IiLi128EEEEEELb0EEENSE_IS8_EEEEENS4_IJSI_SJ_SK_SX_SO_SY_EEENS4_IJSM_SN_SO_NSH_IJLi6EEEENSH_IJLi7ELi8EEEENSH_IJLi9EEEEEEENSH_IJLi6ELi7ELi8ELi9EEEElEENS3_INS4_IJSS_SD_SF_SF_S1A_S1B_EEENS4_IJSI_SK_SJ_SX_SO_SY_EEES1H_S1I_lEENS3_INS4_IJSS_SF_SF_NSB_INS4_IJiNS7_IiLi2EEENS7_IiLi64EEEEEELb0EEES1Q_EEENS4_IJSI_SK_SJ_SX_SY_EEENS4_IJSM_SX_SY_NSH_IJLi5ELi6ELi7EEEENSH_IJLi8ELi9ELi10EEEEEEENSH_IJLi5ELi6ELi7ELi8ELi9ELi10EEEElEENS_31BlockToCTileMap_M00_N00_M01_N01ILi128ELi128ES10_Lb0EEELb0ELb1EEEvPKT0_S22_PT1_T2_T3_T4_T5_,@function
_ZN2ck19kernel_gemm_dl_v1r3INS_28GridwiseGemmDl_km_kn_mn_v1r3ILi256EfffLNS_25InMemoryDataOperationEnumE0ENS_16TensorDescriptorINS_5TupleIJNS_5EmbedINS4_IJiiEEENS4_IJNS_17integral_constantIiLi1EEEiEEELb0EEENS_7UnMergeINS4_IJiS8_EEELb0EEENS_11PassThroughIiEEEEENS4_IJNS_8SequenceIJLi0EEEENSH_IJLi2EEEENSH_IJLi1EEEEEEENS4_IJNSH_IJLi1ELi2EEEENSH_IJLi3ELi4EEEENSH_IJLi5EEEEEEENSH_IJLi3ELi5ELi4EEEElEENS3_INS4_IJNS5_IS6_SC_Lb0EEESD_SF_EEENS4_IJSI_SK_SJ_EEESP_SQ_lEENS3_INS4_IJSS_SF_SF_EEESU_NS4_IJSM_NSH_IJLi3EEEENSH_IJLi4EEEEEEESN_lEELi128ELi128ELi16ELi1ELi4ELi4ELi1ENSH_IJLi8ELi2EEEES11_NSH_IJLi2ELi1ELi4ELi1EEEENSH_IJLi8ELi1ELi32ELi1EEEENSH_IJLi0ELi3ELi1ELi2EEEES14_NSH_IJLi1ELi1ELi4ELi1EEEES14_S15_S12_S13_S14_S14_S15_S14_S15_NSH_IJLi0ELi1ELi2ELi3ELi4ELi5EEEELi5ELi4EEEffNS3_INS4_IJSA_SD_SF_SF_NSB_INS4_IJiNS7_IiLi128EEEEEELb0EEENSE_IS8_EEEEENS4_IJSI_SJ_SK_SX_SO_SY_EEENS4_IJSM_SN_SO_NSH_IJLi6EEEENSH_IJLi7ELi8EEEENSH_IJLi9EEEEEEENSH_IJLi6ELi7ELi8ELi9EEEElEENS3_INS4_IJSS_SD_SF_SF_S1A_S1B_EEENS4_IJSI_SK_SJ_SX_SO_SY_EEES1H_S1I_lEENS3_INS4_IJSS_SF_SF_NSB_INS4_IJiNS7_IiLi2EEENS7_IiLi64EEEEEELb0EEES1Q_EEENS4_IJSI_SK_SJ_SX_SY_EEENS4_IJSM_SX_SY_NSH_IJLi5ELi6ELi7EEEENSH_IJLi8ELi9ELi10EEEEEEENSH_IJLi5ELi6ELi7ELi8ELi9ELi10EEEElEENS_31BlockToCTileMap_M00_N00_M01_N01ILi128ELi128ES10_Lb0EEELb0ELb1EEEvPKT0_S22_PT1_T2_T3_T4_T5_: ; @_ZN2ck19kernel_gemm_dl_v1r3INS_28GridwiseGemmDl_km_kn_mn_v1r3ILi256EfffLNS_25InMemoryDataOperationEnumE0ENS_16TensorDescriptorINS_5TupleIJNS_5EmbedINS4_IJiiEEENS4_IJNS_17integral_constantIiLi1EEEiEEELb0EEENS_7UnMergeINS4_IJiS8_EEELb0EEENS_11PassThroughIiEEEEENS4_IJNS_8SequenceIJLi0EEEENSH_IJLi2EEEENSH_IJLi1EEEEEEENS4_IJNSH_IJLi1ELi2EEEENSH_IJLi3ELi4EEEENSH_IJLi5EEEEEEENSH_IJLi3ELi5ELi4EEEElEENS3_INS4_IJNS5_IS6_SC_Lb0EEESD_SF_EEENS4_IJSI_SK_SJ_EEESP_SQ_lEENS3_INS4_IJSS_SF_SF_EEESU_NS4_IJSM_NSH_IJLi3EEEENSH_IJLi4EEEEEEESN_lEELi128ELi128ELi16ELi1ELi4ELi4ELi1ENSH_IJLi8ELi2EEEES11_NSH_IJLi2ELi1ELi4ELi1EEEENSH_IJLi8ELi1ELi32ELi1EEEENSH_IJLi0ELi3ELi1ELi2EEEES14_NSH_IJLi1ELi1ELi4ELi1EEEES14_S15_S12_S13_S14_S14_S15_S14_S15_NSH_IJLi0ELi1ELi2ELi3ELi4ELi5EEEELi5ELi4EEEffNS3_INS4_IJSA_SD_SF_SF_NSB_INS4_IJiNS7_IiLi128EEEEEELb0EEENSE_IS8_EEEEENS4_IJSI_SJ_SK_SX_SO_SY_EEENS4_IJSM_SN_SO_NSH_IJLi6EEEENSH_IJLi7ELi8EEEENSH_IJLi9EEEEEEENSH_IJLi6ELi7ELi8ELi9EEEElEENS3_INS4_IJSS_SD_SF_SF_S1A_S1B_EEENS4_IJSI_SK_SJ_SX_SO_SY_EEES1H_S1I_lEENS3_INS4_IJSS_SF_SF_NSB_INS4_IJiNS7_IiLi2EEENS7_IiLi64EEEEEELb0EEES1Q_EEENS4_IJSI_SK_SJ_SX_SY_EEENS4_IJSM_SX_SY_NSH_IJLi5ELi6ELi7EEEENSH_IJLi8ELi9ELi10EEEEEEENSH_IJLi5ELi6ELi7ELi8ELi9ELi10EEEElEENS_31BlockToCTileMap_M00_N00_M01_N01ILi128ELi128ES10_Lb0EEELb0ELb1EEEvPKT0_S22_PT1_T2_T3_T4_T5_
; %bb.0:
	s_load_dwordx4 s[12:15], s[4:5], 0x0
	s_load_dwordx2 s[0:1], s[4:5], 0x10
	s_load_dwordx4 s[8:11], s[4:5], 0x108
	s_load_dwordx4 s[20:23], s[4:5], 0x11c
	;; [unrolled: 1-line block ×3, first 2 shown]
	s_load_dword s18, s[4:5], 0x24
	s_load_dword s7, s[4:5], 0x50
	;; [unrolled: 1-line block ×8, first 2 shown]
	s_waitcnt lgkmcnt(0)
	s_mul_hi_u32 s4, s23, s6
	s_add_i32 s4, s6, s4
	s_lshr_b32 s4, s4, s27
	s_mul_i32 s5, s4, s11
	s_sub_i32 s5, s6, s5
	s_mul_hi_u32 s6, s4, s22
	s_add_i32 s6, s4, s6
	s_lshr_b32 s6, s6, s26
	s_mul_i32 s10, s6, s10
	s_sub_i32 s4, s4, s10
	;; [unrolled: 5-line block ×3, first 2 shown]
	s_mul_hi_u32 s9, s10, s20
	s_add_i32 s9, s10, s9
	s_lshr_b32 s9, s9, s24
	v_lshrrev_b32_e32 v1, 4, v0
	s_mul_i32 s9, s9, s8
	v_and_b32_e32 v25, 14, v1
	s_sub_i32 s8, s10, s9
	v_mul_lo_u32 v1, s18, v25
	v_mul_lo_u32 v2, s19, v25
	s_mul_i32 s6, s6, s17
	s_mul_i32 s8, s8, s3
	s_add_i32 s5, s5, s6
	s_add_i32 s4, s4, s8
	v_lshlrev_b32_e32 v26, 2, v0
	v_and_b32_e32 v27, 0x7c, v26
	s_lshl_b32 s17, s4, 7
	s_lshl_b32 s3, s5, 7
	v_add3_u32 v1, v1, v27, s17
	v_add3_u32 v2, v2, v27, s3
	s_lshl_b32 s6, s7, 2
	s_mov_b32 s7, 0x20000
	v_lshlrev_b32_e32 v3, 2, v1
	v_add_u32_e32 v1, s18, v1
	s_lshl_b32 s10, s28, 2
	s_and_b32 s9, s15, 0xffff
	s_mov_b32 s8, s14
	s_mov_b32 s11, s7
	v_lshlrev_b32_e32 v5, 2, v2
	v_add_u32_e32 v2, s19, v2
	s_and_b32 s5, s13, 0xffff
	s_mov_b32 s4, s12
	v_lshlrev_b32_e32 v4, 2, v1
	v_lshlrev_b32_e32 v6, 2, v2
	buffer_load_dwordx4 v[9:12], v5, s[8:11], 0 offen
	buffer_load_dwordx4 v[13:16], v6, s[8:11], 0 offen
	;; [unrolled: 1-line block ×4, first 2 shown]
	v_lshrrev_b32_e32 v28, 5, v0
	v_lshlrev_b32_e32 v0, 1, v0
	v_lshlrev_b32_e32 v29, 6, v28
	v_and_b32_e32 v30, 0x1f8, v0
	v_lshlrev_b32_e32 v28, 3, v28
	v_mov_b32_e32 v3, 0
	v_sub_u32_e32 v29, v30, v29
	v_and_or_b32 v97, v0, 4, v28
	v_lshlrev_b32_e32 v0, 2, v27
	v_and_or_b32 v96, v26, 4, v29
	v_lshl_or_b32 v100, v25, 9, v0
	v_mad_u64_u32 v[25:26], s[12:13], s19, 15, v[2:3]
	v_mad_u64_u32 v[0:1], s[12:13], s18, 15, v[1:2]
	v_lshlrev_b32_e32 v98, 2, v97
	v_lshlrev_b32_e32 v1, 2, v25
	v_add_lshl_u32 v2, v25, s19, 2
	v_lshlrev_b32_e32 v25, 2, v0
	v_lshlrev_b32_e32 v99, 2, v96
	v_add_lshl_u32 v0, v0, s18, 2
	v_mov_b32_e32 v4, 0
	v_mov_b32_e32 v5, 0
	;; [unrolled: 1-line block ×31, first 2 shown]
	s_waitcnt vmcnt(3)
	ds_write_b128 v100, v[9:12] offset:16384
	s_waitcnt vmcnt(2)
	ds_write_b128 v100, v[13:16] offset:16896
	s_waitcnt vmcnt(1)
	ds_write_b128 v100, v[17:20]
	s_waitcnt vmcnt(0)
	ds_write_b128 v100, v[21:24] offset:512
	s_waitcnt lgkmcnt(0)
	s_barrier
	buffer_load_dwordx4 v[64:67], v25, s[4:7], 0 offen
	buffer_load_dwordx4 v[68:71], v0, s[4:7], 0 offen
	ds_read_b128 v[30:33], v98
	ds_read_b128 v[49:52], v99 offset:16384
	buffer_load_dwordx4 v[72:75], v1, s[8:11], 0 offen
	buffer_load_dwordx4 v[76:79], v2, s[8:11], 0 offen
	ds_read_b128 v[80:83], v99 offset:16640
	ds_read_b128 v[92:95], v98 offset:256
	v_mov_b32_e32 v9, 0
	v_mov_b32_e32 v10, 0
	;; [unrolled: 1-line block ×17, first 2 shown]
	s_waitcnt lgkmcnt(2)
	;;#ASMSTART
	
             v_fmac_f32 v4, v30, v49 
             
	;;#ASMEND
	;;#ASMSTART
	
             v_fmac_f32 v5, v30, v50 
             
	;;#ASMEND
	;; [unrolled: 5-line block ×16, first 2 shown]
	s_waitcnt lgkmcnt(1)
	;;#ASMSTART
	
             v_fmac_f32 v20, v30, v80 
             
	;;#ASMEND
	;;#ASMSTART
	
             v_fmac_f32 v21, v30, v81 
             
	;;#ASMEND
	;;#ASMSTART
	
             v_fmac_f32 v22, v30, v82 
             
	;;#ASMEND
	;;#ASMSTART
	
             v_fmac_f32 v23, v30, v83 
             
	;;#ASMEND
	;;#ASMSTART
	
             v_fmac_f32 v24, v31, v80 
             
	;;#ASMEND
	;;#ASMSTART
	
             v_fmac_f32 v25, v31, v81 
             
	;;#ASMEND
	;;#ASMSTART
	
             v_fmac_f32 v26, v31, v82 
             
	;;#ASMEND
	;;#ASMSTART
	
             v_fmac_f32 v27, v31, v83 
             
	;;#ASMEND
	v_mov_b32_e32 v30, 0
	v_mov_b32_e32 v31, 0
	;;#ASMSTART
	
             v_fmac_f32 v28, v32, v80 
             
	;;#ASMEND
	;;#ASMSTART
	
             v_fmac_f32 v29, v32, v81 
             
	;;#ASMEND
	;; [unrolled: 5-line block ×8, first 2 shown]
	v_mov_b32_e32 v32, 0
	v_mov_b32_e32 v33, 0
	ds_read_b128 v[84:87], v98 offset:512
	s_waitcnt lgkmcnt(1)
	;;#ASMSTART
	
             v_fmac_f32 v32, v92, v49 
             
	;;#ASMEND
	;;#ASMSTART
	
             v_fmac_f32 v33, v92, v50 
             
	;;#ASMEND
	;; [unrolled: 5-line block ×13, first 2 shown]
	v_mov_b32_e32 v49, 0
	;;#ASMSTART
	
             v_fmac_f32 v49, v95, v50 
             
	;;#ASMEND
	v_mov_b32_e32 v50, 0
	;;#ASMSTART
	
             v_fmac_f32 v50, v95, v51 
             
	;;#ASMEND
	;; [unrolled: 6-line block ×3, first 2 shown]
	v_mov_b32_e32 v52, 0
	v_mov_b32_e32 v60, 0
	;; [unrolled: 1-line block ×8, first 2 shown]
	ds_read_b128 v[88:91], v99 offset:16896
	;;#ASMSTART
	
             v_fmac_f32 v52, v92, v80 
             
	;;#ASMEND
	;;#ASMSTART
	
             v_fmac_f32 v53, v92, v81 
             
	;;#ASMEND
	;; [unrolled: 5-line block ×16, first 2 shown]
	ds_read_b128 v[80:83], v99 offset:17152
	ds_read_b128 v[92:95], v98 offset:768
	s_waitcnt lgkmcnt(2)
	;;#ASMSTART
	
             v_fmac_f32 v4, v84, v88 
             
	;;#ASMEND
	;;#ASMSTART
	
             v_fmac_f32 v5, v84, v89 
             
	;;#ASMEND
	;; [unrolled: 5-line block ×16, first 2 shown]
	s_waitcnt lgkmcnt(1)
	;;#ASMSTART
	
             v_fmac_f32 v20, v84, v80 
             
	;;#ASMEND
	;;#ASMSTART
	
             v_fmac_f32 v21, v84, v81 
             
	;;#ASMEND
	;; [unrolled: 5-line block ×16, first 2 shown]
	ds_read_b128 v[84:87], v98 offset:1024
	s_waitcnt lgkmcnt(1)
	;;#ASMSTART
	
             v_fmac_f32 v32, v92, v88 
             
	;;#ASMEND
	;;#ASMSTART
	
             v_fmac_f32 v33, v92, v89 
             
	;;#ASMEND
	;; [unrolled: 5-line block ×16, first 2 shown]
	ds_read_b128 v[88:91], v99 offset:17408
	;;#ASMSTART
	
             v_fmac_f32 v52, v92, v80 
             
	;;#ASMEND
	;;#ASMSTART
	
             v_fmac_f32 v53, v92, v81 
             
	;;#ASMEND
	;; [unrolled: 5-line block ×16, first 2 shown]
	ds_read_b128 v[80:83], v99 offset:17664
	ds_read_b128 v[92:95], v98 offset:1280
	s_waitcnt lgkmcnt(2)
	;;#ASMSTART
	
             v_fmac_f32 v4, v84, v88 
             
	;;#ASMEND
	;;#ASMSTART
	
             v_fmac_f32 v5, v84, v89 
             
	;;#ASMEND
	;; [unrolled: 5-line block ×16, first 2 shown]
	s_waitcnt lgkmcnt(1)
	;;#ASMSTART
	
             v_fmac_f32 v20, v84, v80 
             
	;;#ASMEND
	;;#ASMSTART
	
             v_fmac_f32 v21, v84, v81 
             
	;;#ASMEND
	;; [unrolled: 5-line block ×16, first 2 shown]
	ds_read_b128 v[84:87], v98 offset:1536
	s_waitcnt lgkmcnt(1)
	;;#ASMSTART
	
             v_fmac_f32 v32, v92, v88 
             
	;;#ASMEND
	;;#ASMSTART
	
             v_fmac_f32 v33, v92, v89 
             
	;;#ASMEND
	;;#ASMSTART
	
             v_fmac_f32 v34, v92, v90 
             
	;;#ASMEND
	;;#ASMSTART
	
             v_fmac_f32 v35, v92, v91 
             
	;;#ASMEND
	;;#ASMSTART
	
             v_fmac_f32 v40, v93, v88 
             
	;;#ASMEND
	;;#ASMSTART
	
             v_fmac_f32 v41, v93, v89 
             
	;;#ASMEND
	;;#ASMSTART
	
             v_fmac_f32 v42, v93, v90 
             
	;;#ASMEND
	;;#ASMSTART
	
             v_fmac_f32 v43, v93, v91 
             
	;;#ASMEND
	;;#ASMSTART
	
             v_fmac_f32 v44, v94, v88 
             
	;;#ASMEND
	;;#ASMSTART
	
             v_fmac_f32 v45, v94, v89 
             
	;;#ASMEND
	;;#ASMSTART
	
             v_fmac_f32 v46, v94, v90 
             
	;;#ASMEND
	;;#ASMSTART
	
             v_fmac_f32 v47, v94, v91 
             
	;;#ASMEND
	;;#ASMSTART
	
             v_fmac_f32 v48, v95, v88 
             
	;;#ASMEND
	;;#ASMSTART
	
             v_fmac_f32 v49, v95, v89 
             
	;;#ASMEND
	;;#ASMSTART
	
             v_fmac_f32 v50, v95, v90 
             
	;;#ASMEND
	;;#ASMSTART
	
             v_fmac_f32 v51, v95, v91 
             
	;;#ASMEND
	ds_read_b128 v[88:91], v99 offset:17920
	;;#ASMSTART
	
             v_fmac_f32 v52, v92, v80 
             
	;;#ASMEND
	;;#ASMSTART
	
             v_fmac_f32 v53, v92, v81 
             
	;;#ASMEND
	;;#ASMSTART
	
             v_fmac_f32 v54, v92, v82 
             
	;;#ASMEND
	;;#ASMSTART
	
             v_fmac_f32 v55, v92, v83 
             
	;;#ASMEND
	;;#ASMSTART
	
             v_fmac_f32 v56, v93, v80 
             
	;;#ASMEND
	;;#ASMSTART
	
             v_fmac_f32 v57, v93, v81 
             
	;;#ASMEND
	;;#ASMSTART
	
             v_fmac_f32 v58, v93, v82 
             
	;;#ASMEND
	;;#ASMSTART
	
             v_fmac_f32 v59, v93, v83 
             
	;;#ASMEND
	;;#ASMSTART
	
             v_fmac_f32 v60, v94, v80 
             
	;;#ASMEND
	;;#ASMSTART
	
             v_fmac_f32 v61, v94, v81 
             
	;;#ASMEND
	;;#ASMSTART
	
             v_fmac_f32 v62, v94, v82 
             
	;;#ASMEND
	;;#ASMSTART
	
             v_fmac_f32 v63, v94, v83 
             
	;;#ASMEND
	;;#ASMSTART
	
             v_fmac_f32 v0, v95, v80 
             
	;;#ASMEND
	;;#ASMSTART
	
             v_fmac_f32 v1, v95, v81 
             
	;;#ASMEND
	;;#ASMSTART
	
             v_fmac_f32 v2, v95, v82 
             
	;;#ASMEND
	;;#ASMSTART
	
             v_fmac_f32 v3, v95, v83 
             
	;;#ASMEND
	ds_read_b128 v[80:83], v99 offset:18176
	ds_read_b128 v[92:95], v98 offset:1792
	s_waitcnt lgkmcnt(2)
	;;#ASMSTART
	
             v_fmac_f32 v4, v84, v88 
             
	;;#ASMEND
	;;#ASMSTART
	
             v_fmac_f32 v5, v84, v89 
             
	;;#ASMEND
	;;#ASMSTART
	
             v_fmac_f32 v6, v84, v90 
             
	;;#ASMEND
	;;#ASMSTART
	
             v_fmac_f32 v7, v84, v91 
             
	;;#ASMEND
	;;#ASMSTART
	
             v_fmac_f32 v8, v85, v88 
             
	;;#ASMEND
	;;#ASMSTART
	
             v_fmac_f32 v9, v85, v89 
             
	;;#ASMEND
	;;#ASMSTART
	
             v_fmac_f32 v10, v85, v90 
             
	;;#ASMEND
	;;#ASMSTART
	
             v_fmac_f32 v11, v85, v91 
             
	;;#ASMEND
	;;#ASMSTART
	
             v_fmac_f32 v12, v86, v88 
             
	;;#ASMEND
	;;#ASMSTART
	
             v_fmac_f32 v13, v86, v89 
             
	;;#ASMEND
	;;#ASMSTART
	
             v_fmac_f32 v14, v86, v90 
             
	;;#ASMEND
	;;#ASMSTART
	
             v_fmac_f32 v15, v86, v91 
             
	;;#ASMEND
	;;#ASMSTART
	
             v_fmac_f32 v16, v87, v88 
             
	;;#ASMEND
	;;#ASMSTART
	
             v_fmac_f32 v17, v87, v89 
             
	;;#ASMEND
	;;#ASMSTART
	
             v_fmac_f32 v18, v87, v90 
             
	;;#ASMEND
	;;#ASMSTART
	
             v_fmac_f32 v19, v87, v91 
             
	;;#ASMEND
	s_waitcnt lgkmcnt(1)
	;;#ASMSTART
	
             v_fmac_f32 v20, v84, v80 
             
	;;#ASMEND
	;;#ASMSTART
	
             v_fmac_f32 v21, v84, v81 
             
	;;#ASMEND
	;; [unrolled: 5-line block ×16, first 2 shown]
	ds_read_b128 v[84:87], v98 offset:2048
	s_waitcnt lgkmcnt(1)
	;;#ASMSTART
	
             v_fmac_f32 v32, v92, v88 
             
	;;#ASMEND
	;;#ASMSTART
	
             v_fmac_f32 v33, v92, v89 
             
	;;#ASMEND
	;; [unrolled: 5-line block ×16, first 2 shown]
	ds_read_b128 v[88:91], v99 offset:18432
	;;#ASMSTART
	
             v_fmac_f32 v52, v92, v80 
             
	;;#ASMEND
	;;#ASMSTART
	
             v_fmac_f32 v53, v92, v81 
             
	;;#ASMEND
	;; [unrolled: 5-line block ×16, first 2 shown]
	ds_read_b128 v[80:83], v99 offset:18688
	ds_read_b128 v[92:95], v98 offset:2304
	s_waitcnt lgkmcnt(2)
	;;#ASMSTART
	
             v_fmac_f32 v4, v84, v88 
             
	;;#ASMEND
	;;#ASMSTART
	
             v_fmac_f32 v5, v84, v89 
             
	;;#ASMEND
	;; [unrolled: 5-line block ×16, first 2 shown]
	s_waitcnt lgkmcnt(1)
	;;#ASMSTART
	
             v_fmac_f32 v20, v84, v80 
             
	;;#ASMEND
	;;#ASMSTART
	
             v_fmac_f32 v21, v84, v81 
             
	;;#ASMEND
	;; [unrolled: 5-line block ×16, first 2 shown]
	ds_read_b128 v[84:87], v98 offset:2560
	s_waitcnt lgkmcnt(1)
	;;#ASMSTART
	
             v_fmac_f32 v32, v92, v88 
             
	;;#ASMEND
	;;#ASMSTART
	
             v_fmac_f32 v33, v92, v89 
             
	;;#ASMEND
	;; [unrolled: 5-line block ×16, first 2 shown]
	ds_read_b128 v[88:91], v99 offset:18944
	;;#ASMSTART
	
             v_fmac_f32 v52, v92, v80 
             
	;;#ASMEND
	;;#ASMSTART
	
             v_fmac_f32 v53, v92, v81 
             
	;;#ASMEND
	;; [unrolled: 5-line block ×16, first 2 shown]
	ds_read_b128 v[80:83], v99 offset:19200
	ds_read_b128 v[92:95], v98 offset:2816
	s_waitcnt lgkmcnt(2)
	;;#ASMSTART
	
             v_fmac_f32 v4, v84, v88 
             
	;;#ASMEND
	;;#ASMSTART
	
             v_fmac_f32 v5, v84, v89 
             
	;;#ASMEND
	;; [unrolled: 5-line block ×16, first 2 shown]
	s_waitcnt lgkmcnt(1)
	;;#ASMSTART
	
             v_fmac_f32 v20, v84, v80 
             
	;;#ASMEND
	;;#ASMSTART
	
             v_fmac_f32 v21, v84, v81 
             
	;;#ASMEND
	;; [unrolled: 5-line block ×16, first 2 shown]
	ds_read_b128 v[84:87], v98 offset:3072
	s_waitcnt lgkmcnt(1)
	;;#ASMSTART
	
             v_fmac_f32 v32, v92, v88 
             
	;;#ASMEND
	;;#ASMSTART
	
             v_fmac_f32 v33, v92, v89 
             
	;;#ASMEND
	;; [unrolled: 5-line block ×16, first 2 shown]
	ds_read_b128 v[88:91], v99 offset:19456
	;;#ASMSTART
	
             v_fmac_f32 v52, v92, v80 
             
	;;#ASMEND
	;;#ASMSTART
	
             v_fmac_f32 v53, v92, v81 
             
	;;#ASMEND
	;; [unrolled: 5-line block ×16, first 2 shown]
	ds_read_b128 v[80:83], v99 offset:19712
	ds_read_b128 v[92:95], v98 offset:3328
	s_waitcnt lgkmcnt(2)
	;;#ASMSTART
	
             v_fmac_f32 v4, v84, v88 
             
	;;#ASMEND
	;;#ASMSTART
	
             v_fmac_f32 v5, v84, v89 
             
	;;#ASMEND
	;; [unrolled: 5-line block ×16, first 2 shown]
	s_waitcnt lgkmcnt(1)
	;;#ASMSTART
	
             v_fmac_f32 v20, v84, v80 
             
	;;#ASMEND
	;;#ASMSTART
	
             v_fmac_f32 v21, v84, v81 
             
	;;#ASMEND
	;;#ASMSTART
	
             v_fmac_f32 v22, v84, v82 
             
	;;#ASMEND
	;;#ASMSTART
	
             v_fmac_f32 v23, v84, v83 
             
	;;#ASMEND
	;;#ASMSTART
	
             v_fmac_f32 v24, v85, v80 
             
	;;#ASMEND
	;;#ASMSTART
	
             v_fmac_f32 v25, v85, v81 
             
	;;#ASMEND
	;;#ASMSTART
	
             v_fmac_f32 v26, v85, v82 
             
	;;#ASMEND
	;;#ASMSTART
	
             v_fmac_f32 v27, v85, v83 
             
	;;#ASMEND
	;;#ASMSTART
	
             v_fmac_f32 v28, v86, v80 
             
	;;#ASMEND
	;;#ASMSTART
	
             v_fmac_f32 v29, v86, v81 
             
	;;#ASMEND
	;;#ASMSTART
	
             v_fmac_f32 v30, v86, v82 
             
	;;#ASMEND
	;;#ASMSTART
	
             v_fmac_f32 v31, v86, v83 
             
	;;#ASMEND
	;;#ASMSTART
	
             v_fmac_f32 v36, v87, v80 
             
	;;#ASMEND
	;;#ASMSTART
	
             v_fmac_f32 v37, v87, v81 
             
	;;#ASMEND
	;;#ASMSTART
	
             v_fmac_f32 v38, v87, v82 
             
	;;#ASMEND
	;;#ASMSTART
	
             v_fmac_f32 v39, v87, v83 
             
	;;#ASMEND
	ds_read_b128 v[84:87], v98 offset:3584
	s_waitcnt lgkmcnt(1)
	;;#ASMSTART
	
             v_fmac_f32 v32, v92, v88 
             
	;;#ASMEND
	;;#ASMSTART
	
             v_fmac_f32 v33, v92, v89 
             
	;;#ASMEND
	;; [unrolled: 5-line block ×16, first 2 shown]
	ds_read_b128 v[88:91], v99 offset:19968
	;;#ASMSTART
	
             v_fmac_f32 v52, v92, v80 
             
	;;#ASMEND
	;;#ASMSTART
	
             v_fmac_f32 v53, v92, v81 
             
	;;#ASMEND
	;; [unrolled: 5-line block ×16, first 2 shown]
	ds_read_b128 v[80:83], v99 offset:20224
	ds_read_b128 v[92:95], v98 offset:3840
	s_waitcnt lgkmcnt(2)
	;;#ASMSTART
	
             v_fmac_f32 v4, v84, v88 
             
	;;#ASMEND
	;;#ASMSTART
	
             v_fmac_f32 v5, v84, v89 
             
	;;#ASMEND
	;; [unrolled: 5-line block ×16, first 2 shown]
	s_waitcnt lgkmcnt(1)
	;;#ASMSTART
	
             v_fmac_f32 v20, v84, v80 
             
	;;#ASMEND
	;;#ASMSTART
	
             v_fmac_f32 v21, v84, v81 
             
	;;#ASMEND
	;; [unrolled: 5-line block ×16, first 2 shown]
	ds_read_b128 v[84:87], v98 offset:4096
	s_waitcnt lgkmcnt(1)
	;;#ASMSTART
	
             v_fmac_f32 v32, v92, v88 
             
	;;#ASMEND
	;;#ASMSTART
	
             v_fmac_f32 v33, v92, v89 
             
	;;#ASMEND
	;; [unrolled: 5-line block ×16, first 2 shown]
	ds_read_b128 v[88:91], v99 offset:20480
	;;#ASMSTART
	
             v_fmac_f32 v52, v92, v80 
             
	;;#ASMEND
	;;#ASMSTART
	
             v_fmac_f32 v53, v92, v81 
             
	;;#ASMEND
	;; [unrolled: 5-line block ×16, first 2 shown]
	ds_read_b128 v[80:83], v99 offset:20736
	ds_read_b128 v[92:95], v98 offset:4352
	s_waitcnt lgkmcnt(2)
	;;#ASMSTART
	
             v_fmac_f32 v4, v84, v88 
             
	;;#ASMEND
	;;#ASMSTART
	
             v_fmac_f32 v5, v84, v89 
             
	;;#ASMEND
	;; [unrolled: 5-line block ×16, first 2 shown]
	s_waitcnt lgkmcnt(1)
	;;#ASMSTART
	
             v_fmac_f32 v20, v84, v80 
             
	;;#ASMEND
	;;#ASMSTART
	
             v_fmac_f32 v21, v84, v81 
             
	;;#ASMEND
	;; [unrolled: 5-line block ×16, first 2 shown]
	ds_read_b128 v[84:87], v98 offset:4608
	s_waitcnt lgkmcnt(1)
	;;#ASMSTART
	
             v_fmac_f32 v32, v92, v88 
             
	;;#ASMEND
	;;#ASMSTART
	
             v_fmac_f32 v33, v92, v89 
             
	;;#ASMEND
	;; [unrolled: 5-line block ×16, first 2 shown]
	ds_read_b128 v[88:91], v99 offset:20992
	;;#ASMSTART
	
             v_fmac_f32 v52, v92, v80 
             
	;;#ASMEND
	;;#ASMSTART
	
             v_fmac_f32 v53, v92, v81 
             
	;;#ASMEND
	;;#ASMSTART
	
             v_fmac_f32 v54, v92, v82 
             
	;;#ASMEND
	;;#ASMSTART
	
             v_fmac_f32 v55, v92, v83 
             
	;;#ASMEND
	;;#ASMSTART
	
             v_fmac_f32 v56, v93, v80 
             
	;;#ASMEND
	;;#ASMSTART
	
             v_fmac_f32 v57, v93, v81 
             
	;;#ASMEND
	;;#ASMSTART
	
             v_fmac_f32 v58, v93, v82 
             
	;;#ASMEND
	;;#ASMSTART
	
             v_fmac_f32 v59, v93, v83 
             
	;;#ASMEND
	;;#ASMSTART
	
             v_fmac_f32 v60, v94, v80 
             
	;;#ASMEND
	;;#ASMSTART
	
             v_fmac_f32 v61, v94, v81 
             
	;;#ASMEND
	;;#ASMSTART
	
             v_fmac_f32 v62, v94, v82 
             
	;;#ASMEND
	;;#ASMSTART
	
             v_fmac_f32 v63, v94, v83 
             
	;;#ASMEND
	;;#ASMSTART
	
             v_fmac_f32 v0, v95, v80 
             
	;;#ASMEND
	;;#ASMSTART
	
             v_fmac_f32 v1, v95, v81 
             
	;;#ASMEND
	;;#ASMSTART
	
             v_fmac_f32 v2, v95, v82 
             
	;;#ASMEND
	;;#ASMSTART
	
             v_fmac_f32 v3, v95, v83 
             
	;;#ASMEND
	ds_read_b128 v[80:83], v99 offset:21248
	ds_read_b128 v[92:95], v98 offset:4864
	s_waitcnt lgkmcnt(2)
	;;#ASMSTART
	
             v_fmac_f32 v4, v84, v88 
             
	;;#ASMEND
	;;#ASMSTART
	
             v_fmac_f32 v5, v84, v89 
             
	;;#ASMEND
	;; [unrolled: 5-line block ×16, first 2 shown]
	s_waitcnt lgkmcnt(1)
	;;#ASMSTART
	
             v_fmac_f32 v20, v84, v80 
             
	;;#ASMEND
	;;#ASMSTART
	
             v_fmac_f32 v21, v84, v81 
             
	;;#ASMEND
	;; [unrolled: 5-line block ×16, first 2 shown]
	ds_read_b128 v[84:87], v98 offset:5120
	s_waitcnt lgkmcnt(1)
	;;#ASMSTART
	
             v_fmac_f32 v32, v92, v88 
             
	;;#ASMEND
	;;#ASMSTART
	
             v_fmac_f32 v33, v92, v89 
             
	;;#ASMEND
	;; [unrolled: 5-line block ×16, first 2 shown]
	ds_read_b128 v[88:91], v99 offset:21504
	;;#ASMSTART
	
             v_fmac_f32 v52, v92, v80 
             
	;;#ASMEND
	;;#ASMSTART
	
             v_fmac_f32 v53, v92, v81 
             
	;;#ASMEND
	;; [unrolled: 5-line block ×16, first 2 shown]
	ds_read_b128 v[80:83], v99 offset:21760
	ds_read_b128 v[92:95], v98 offset:5376
	s_waitcnt lgkmcnt(2)
	;;#ASMSTART
	
             v_fmac_f32 v4, v84, v88 
             
	;;#ASMEND
	;;#ASMSTART
	
             v_fmac_f32 v5, v84, v89 
             
	;;#ASMEND
	;; [unrolled: 5-line block ×16, first 2 shown]
	s_waitcnt lgkmcnt(1)
	;;#ASMSTART
	
             v_fmac_f32 v20, v84, v80 
             
	;;#ASMEND
	;;#ASMSTART
	
             v_fmac_f32 v21, v84, v81 
             
	;;#ASMEND
	;; [unrolled: 5-line block ×16, first 2 shown]
	ds_read_b128 v[84:87], v98 offset:5632
	s_waitcnt lgkmcnt(1)
	;;#ASMSTART
	
             v_fmac_f32 v32, v92, v88 
             
	;;#ASMEND
	;;#ASMSTART
	
             v_fmac_f32 v33, v92, v89 
             
	;;#ASMEND
	;; [unrolled: 5-line block ×16, first 2 shown]
	ds_read_b128 v[88:91], v99 offset:22016
	;;#ASMSTART
	
             v_fmac_f32 v52, v92, v80 
             
	;;#ASMEND
	;;#ASMSTART
	
             v_fmac_f32 v53, v92, v81 
             
	;;#ASMEND
	;; [unrolled: 5-line block ×16, first 2 shown]
	ds_read_b128 v[80:83], v99 offset:22272
	ds_read_b128 v[92:95], v98 offset:5888
	s_waitcnt lgkmcnt(2)
	;;#ASMSTART
	
             v_fmac_f32 v4, v84, v88 
             
	;;#ASMEND
	;;#ASMSTART
	
             v_fmac_f32 v5, v84, v89 
             
	;;#ASMEND
	;; [unrolled: 5-line block ×16, first 2 shown]
	s_waitcnt lgkmcnt(1)
	;;#ASMSTART
	
             v_fmac_f32 v20, v84, v80 
             
	;;#ASMEND
	;;#ASMSTART
	
             v_fmac_f32 v21, v84, v81 
             
	;;#ASMEND
	;; [unrolled: 5-line block ×16, first 2 shown]
	ds_read_b128 v[84:87], v98 offset:6144
	s_waitcnt lgkmcnt(1)
	;;#ASMSTART
	
             v_fmac_f32 v32, v92, v88 
             
	;;#ASMEND
	;;#ASMSTART
	
             v_fmac_f32 v33, v92, v89 
             
	;;#ASMEND
	;; [unrolled: 5-line block ×16, first 2 shown]
	ds_read_b128 v[88:91], v99 offset:22528
	;;#ASMSTART
	
             v_fmac_f32 v52, v92, v80 
             
	;;#ASMEND
	;;#ASMSTART
	
             v_fmac_f32 v53, v92, v81 
             
	;;#ASMEND
	;; [unrolled: 5-line block ×16, first 2 shown]
	ds_read_b128 v[80:83], v99 offset:22784
	ds_read_b128 v[92:95], v98 offset:6400
	s_waitcnt lgkmcnt(2)
	;;#ASMSTART
	
             v_fmac_f32 v4, v84, v88 
             
	;;#ASMEND
	;;#ASMSTART
	
             v_fmac_f32 v5, v84, v89 
             
	;;#ASMEND
	;; [unrolled: 5-line block ×16, first 2 shown]
	s_waitcnt lgkmcnt(1)
	;;#ASMSTART
	
             v_fmac_f32 v20, v84, v80 
             
	;;#ASMEND
	;;#ASMSTART
	
             v_fmac_f32 v21, v84, v81 
             
	;;#ASMEND
	;; [unrolled: 5-line block ×16, first 2 shown]
	ds_read_b128 v[84:87], v98 offset:6656
	s_waitcnt lgkmcnt(1)
	;;#ASMSTART
	
             v_fmac_f32 v32, v92, v88 
             
	;;#ASMEND
	;;#ASMSTART
	
             v_fmac_f32 v33, v92, v89 
             
	;;#ASMEND
	;; [unrolled: 5-line block ×16, first 2 shown]
	ds_read_b128 v[88:91], v99 offset:23040
	;;#ASMSTART
	
             v_fmac_f32 v52, v92, v80 
             
	;;#ASMEND
	;;#ASMSTART
	
             v_fmac_f32 v53, v92, v81 
             
	;;#ASMEND
	;; [unrolled: 5-line block ×16, first 2 shown]
	ds_read_b128 v[80:83], v99 offset:23296
	ds_read_b128 v[92:95], v98 offset:6912
	s_waitcnt lgkmcnt(2)
	;;#ASMSTART
	
             v_fmac_f32 v4, v84, v88 
             
	;;#ASMEND
	;;#ASMSTART
	
             v_fmac_f32 v5, v84, v89 
             
	;;#ASMEND
	;; [unrolled: 5-line block ×16, first 2 shown]
	s_waitcnt lgkmcnt(1)
	;;#ASMSTART
	
             v_fmac_f32 v20, v84, v80 
             
	;;#ASMEND
	;;#ASMSTART
	
             v_fmac_f32 v21, v84, v81 
             
	;;#ASMEND
	;; [unrolled: 5-line block ×16, first 2 shown]
	ds_read_b128 v[84:87], v98 offset:7168
	s_waitcnt lgkmcnt(1)
	;;#ASMSTART
	
             v_fmac_f32 v32, v92, v88 
             
	;;#ASMEND
	;;#ASMSTART
	
             v_fmac_f32 v33, v92, v89 
             
	;;#ASMEND
	;; [unrolled: 5-line block ×16, first 2 shown]
	ds_read_b128 v[88:91], v99 offset:23552
	;;#ASMSTART
	
             v_fmac_f32 v52, v92, v80 
             
	;;#ASMEND
	;;#ASMSTART
	
             v_fmac_f32 v53, v92, v81 
             
	;;#ASMEND
	;;#ASMSTART
	
             v_fmac_f32 v54, v92, v82 
             
	;;#ASMEND
	;;#ASMSTART
	
             v_fmac_f32 v55, v92, v83 
             
	;;#ASMEND
	;;#ASMSTART
	
             v_fmac_f32 v56, v93, v80 
             
	;;#ASMEND
	;;#ASMSTART
	
             v_fmac_f32 v57, v93, v81 
             
	;;#ASMEND
	;;#ASMSTART
	
             v_fmac_f32 v58, v93, v82 
             
	;;#ASMEND
	;;#ASMSTART
	
             v_fmac_f32 v59, v93, v83 
             
	;;#ASMEND
	;;#ASMSTART
	
             v_fmac_f32 v60, v94, v80 
             
	;;#ASMEND
	;;#ASMSTART
	
             v_fmac_f32 v61, v94, v81 
             
	;;#ASMEND
	;;#ASMSTART
	
             v_fmac_f32 v62, v94, v82 
             
	;;#ASMEND
	;;#ASMSTART
	
             v_fmac_f32 v63, v94, v83 
             
	;;#ASMEND
	;;#ASMSTART
	
             v_fmac_f32 v0, v95, v80 
             
	;;#ASMEND
	;;#ASMSTART
	
             v_fmac_f32 v1, v95, v81 
             
	;;#ASMEND
	;;#ASMSTART
	
             v_fmac_f32 v2, v95, v82 
             
	;;#ASMEND
	;;#ASMSTART
	
             v_fmac_f32 v3, v95, v83 
             
	;;#ASMEND
	ds_read_b128 v[80:83], v99 offset:23808
	ds_read_b128 v[92:95], v98 offset:7424
	s_waitcnt lgkmcnt(2)
	;;#ASMSTART
	
             v_fmac_f32 v4, v84, v88 
             
	;;#ASMEND
	;;#ASMSTART
	
             v_fmac_f32 v5, v84, v89 
             
	;;#ASMEND
	;; [unrolled: 5-line block ×16, first 2 shown]
	s_waitcnt lgkmcnt(1)
	;;#ASMSTART
	
             v_fmac_f32 v20, v84, v80 
             
	;;#ASMEND
	;;#ASMSTART
	
             v_fmac_f32 v21, v84, v81 
             
	;;#ASMEND
	;; [unrolled: 5-line block ×16, first 2 shown]
	ds_read_b128 v[84:87], v98 offset:7680
	s_waitcnt lgkmcnt(1)
	;;#ASMSTART
	
             v_fmac_f32 v32, v92, v88 
             
	;;#ASMEND
	;;#ASMSTART
	
             v_fmac_f32 v33, v92, v89 
             
	;;#ASMEND
	;; [unrolled: 5-line block ×16, first 2 shown]
	ds_read_b128 v[88:91], v99 offset:24064
	;;#ASMSTART
	
             v_fmac_f32 v52, v92, v80 
             
	;;#ASMEND
	;;#ASMSTART
	
             v_fmac_f32 v53, v92, v81 
             
	;;#ASMEND
	;; [unrolled: 5-line block ×16, first 2 shown]
	ds_read_b128 v[80:83], v99 offset:24320
	ds_read_b128 v[92:95], v98 offset:7936
	s_waitcnt lgkmcnt(2)
	;;#ASMSTART
	
             v_fmac_f32 v4, v84, v88 
             
	;;#ASMEND
	;;#ASMSTART
	
             v_fmac_f32 v5, v84, v89 
             
	;;#ASMEND
	;; [unrolled: 5-line block ×16, first 2 shown]
	s_waitcnt lgkmcnt(1)
	;;#ASMSTART
	
             v_fmac_f32 v20, v84, v80 
             
	;;#ASMEND
	;;#ASMSTART
	
             v_fmac_f32 v21, v84, v81 
             
	;;#ASMEND
	;; [unrolled: 5-line block ×16, first 2 shown]
	s_waitcnt lgkmcnt(0)
	;;#ASMSTART
	
             v_fmac_f32 v32, v92, v88 
             
	;;#ASMEND
	;;#ASMSTART
	
             v_fmac_f32 v33, v92, v89 
             
	;;#ASMEND
	;; [unrolled: 5-line block ×32, first 2 shown]
	s_waitcnt vmcnt(3)
	ds_write_b128 v100, v[64:67] offset:8192
	s_waitcnt vmcnt(2)
	ds_write_b128 v100, v[68:71] offset:8704
	;; [unrolled: 2-line block ×4, first 2 shown]
	s_waitcnt lgkmcnt(0)
	s_barrier
	ds_read_b128 v[68:71], v98 offset:8192
	ds_read_b128 v[72:75], v99 offset:24576
	;; [unrolled: 1-line block ×4, first 2 shown]
	s_waitcnt lgkmcnt(2)
	;;#ASMSTART
	
             v_fmac_f32 v4, v68, v72 
             
	;;#ASMEND
	;;#ASMSTART
	
             v_fmac_f32 v5, v68, v73 
             
	;;#ASMEND
	;; [unrolled: 5-line block ×16, first 2 shown]
	s_waitcnt lgkmcnt(1)
	;;#ASMSTART
	
             v_fmac_f32 v20, v68, v64 
             
	;;#ASMEND
	;;#ASMSTART
	
             v_fmac_f32 v21, v68, v65 
             
	;;#ASMEND
	;;#ASMSTART
	
             v_fmac_f32 v22, v68, v66 
             
	;;#ASMEND
	;;#ASMSTART
	
             v_fmac_f32 v23, v68, v67 
             
	;;#ASMEND
	;;#ASMSTART
	
             v_fmac_f32 v24, v69, v64 
             
	;;#ASMEND
	;;#ASMSTART
	
             v_fmac_f32 v25, v69, v65 
             
	;;#ASMEND
	;;#ASMSTART
	
             v_fmac_f32 v26, v69, v66 
             
	;;#ASMEND
	;;#ASMSTART
	
             v_fmac_f32 v27, v69, v67 
             
	;;#ASMEND
	;;#ASMSTART
	
             v_fmac_f32 v28, v70, v64 
             
	;;#ASMEND
	;;#ASMSTART
	
             v_fmac_f32 v29, v70, v65 
             
	;;#ASMEND
	;;#ASMSTART
	
             v_fmac_f32 v30, v70, v66 
             
	;;#ASMEND
	;;#ASMSTART
	
             v_fmac_f32 v31, v70, v67 
             
	;;#ASMEND
	;;#ASMSTART
	
             v_fmac_f32 v36, v71, v64 
             
	;;#ASMEND
	;;#ASMSTART
	
             v_fmac_f32 v37, v71, v65 
             
	;;#ASMEND
	;;#ASMSTART
	
             v_fmac_f32 v38, v71, v66 
             
	;;#ASMEND
	;;#ASMSTART
	
             v_fmac_f32 v39, v71, v67 
             
	;;#ASMEND
	ds_read_b128 v[68:71], v98 offset:8704
	s_waitcnt lgkmcnt(1)
	;;#ASMSTART
	
             v_fmac_f32 v32, v76, v72 
             
	;;#ASMEND
	;;#ASMSTART
	
             v_fmac_f32 v33, v76, v73 
             
	;;#ASMEND
	;; [unrolled: 5-line block ×16, first 2 shown]
	ds_read_b128 v[72:75], v99 offset:25088
	;;#ASMSTART
	
             v_fmac_f32 v52, v76, v64 
             
	;;#ASMEND
	;;#ASMSTART
	
             v_fmac_f32 v53, v76, v65 
             
	;;#ASMEND
	;; [unrolled: 5-line block ×16, first 2 shown]
	ds_read_b128 v[64:67], v99 offset:25344
	ds_read_b128 v[76:79], v98 offset:8960
	s_waitcnt lgkmcnt(2)
	;;#ASMSTART
	
             v_fmac_f32 v4, v68, v72 
             
	;;#ASMEND
	;;#ASMSTART
	
             v_fmac_f32 v5, v68, v73 
             
	;;#ASMEND
	;; [unrolled: 5-line block ×16, first 2 shown]
	s_waitcnt lgkmcnt(1)
	;;#ASMSTART
	
             v_fmac_f32 v20, v68, v64 
             
	;;#ASMEND
	;;#ASMSTART
	
             v_fmac_f32 v21, v68, v65 
             
	;;#ASMEND
	;; [unrolled: 5-line block ×16, first 2 shown]
	ds_read_b128 v[68:71], v98 offset:9216
	s_waitcnt lgkmcnt(1)
	;;#ASMSTART
	
             v_fmac_f32 v32, v76, v72 
             
	;;#ASMEND
	;;#ASMSTART
	
             v_fmac_f32 v33, v76, v73 
             
	;;#ASMEND
	;;#ASMSTART
	
             v_fmac_f32 v34, v76, v74 
             
	;;#ASMEND
	;;#ASMSTART
	
             v_fmac_f32 v35, v76, v75 
             
	;;#ASMEND
	;;#ASMSTART
	
             v_fmac_f32 v40, v77, v72 
             
	;;#ASMEND
	;;#ASMSTART
	
             v_fmac_f32 v41, v77, v73 
             
	;;#ASMEND
	;;#ASMSTART
	
             v_fmac_f32 v42, v77, v74 
             
	;;#ASMEND
	;;#ASMSTART
	
             v_fmac_f32 v43, v77, v75 
             
	;;#ASMEND
	;;#ASMSTART
	
             v_fmac_f32 v44, v78, v72 
             
	;;#ASMEND
	;;#ASMSTART
	
             v_fmac_f32 v45, v78, v73 
             
	;;#ASMEND
	;;#ASMSTART
	
             v_fmac_f32 v46, v78, v74 
             
	;;#ASMEND
	;;#ASMSTART
	
             v_fmac_f32 v47, v78, v75 
             
	;;#ASMEND
	;;#ASMSTART
	
             v_fmac_f32 v48, v79, v72 
             
	;;#ASMEND
	;;#ASMSTART
	
             v_fmac_f32 v49, v79, v73 
             
	;;#ASMEND
	;;#ASMSTART
	
             v_fmac_f32 v50, v79, v74 
             
	;;#ASMEND
	;;#ASMSTART
	
             v_fmac_f32 v51, v79, v75 
             
	;;#ASMEND
	ds_read_b128 v[72:75], v99 offset:25600
	;;#ASMSTART
	
             v_fmac_f32 v52, v76, v64 
             
	;;#ASMEND
	;;#ASMSTART
	
             v_fmac_f32 v53, v76, v65 
             
	;;#ASMEND
	;; [unrolled: 5-line block ×16, first 2 shown]
	ds_read_b128 v[64:67], v99 offset:25856
	ds_read_b128 v[76:79], v98 offset:9472
	s_waitcnt lgkmcnt(2)
	;;#ASMSTART
	
             v_fmac_f32 v4, v68, v72 
             
	;;#ASMEND
	;;#ASMSTART
	
             v_fmac_f32 v5, v68, v73 
             
	;;#ASMEND
	;;#ASMSTART
	
             v_fmac_f32 v6, v68, v74 
             
	;;#ASMEND
	;;#ASMSTART
	
             v_fmac_f32 v7, v68, v75 
             
	;;#ASMEND
	;;#ASMSTART
	
             v_fmac_f32 v8, v69, v72 
             
	;;#ASMEND
	;;#ASMSTART
	
             v_fmac_f32 v9, v69, v73 
             
	;;#ASMEND
	;;#ASMSTART
	
             v_fmac_f32 v10, v69, v74 
             
	;;#ASMEND
	;;#ASMSTART
	
             v_fmac_f32 v11, v69, v75 
             
	;;#ASMEND
	;;#ASMSTART
	
             v_fmac_f32 v12, v70, v72 
             
	;;#ASMEND
	;;#ASMSTART
	
             v_fmac_f32 v13, v70, v73 
             
	;;#ASMEND
	;;#ASMSTART
	
             v_fmac_f32 v14, v70, v74 
             
	;;#ASMEND
	;;#ASMSTART
	
             v_fmac_f32 v15, v70, v75 
             
	;;#ASMEND
	;;#ASMSTART
	
             v_fmac_f32 v16, v71, v72 
             
	;;#ASMEND
	;;#ASMSTART
	
             v_fmac_f32 v17, v71, v73 
             
	;;#ASMEND
	;;#ASMSTART
	
             v_fmac_f32 v18, v71, v74 
             
	;;#ASMEND
	;;#ASMSTART
	
             v_fmac_f32 v19, v71, v75 
             
	;;#ASMEND
	s_waitcnt lgkmcnt(1)
	;;#ASMSTART
	
             v_fmac_f32 v20, v68, v64 
             
	;;#ASMEND
	;;#ASMSTART
	
             v_fmac_f32 v21, v68, v65 
             
	;;#ASMEND
	;; [unrolled: 5-line block ×16, first 2 shown]
	ds_read_b128 v[68:71], v98 offset:9728
	s_waitcnt lgkmcnt(1)
	;;#ASMSTART
	
             v_fmac_f32 v32, v76, v72 
             
	;;#ASMEND
	;;#ASMSTART
	
             v_fmac_f32 v33, v76, v73 
             
	;;#ASMEND
	;; [unrolled: 5-line block ×16, first 2 shown]
	ds_read_b128 v[72:75], v99 offset:26112
	;;#ASMSTART
	
             v_fmac_f32 v52, v76, v64 
             
	;;#ASMEND
	;;#ASMSTART
	
             v_fmac_f32 v53, v76, v65 
             
	;;#ASMEND
	;; [unrolled: 5-line block ×16, first 2 shown]
	ds_read_b128 v[64:67], v99 offset:26368
	ds_read_b128 v[76:79], v98 offset:9984
	s_waitcnt lgkmcnt(2)
	;;#ASMSTART
	
             v_fmac_f32 v4, v68, v72 
             
	;;#ASMEND
	;;#ASMSTART
	
             v_fmac_f32 v5, v68, v73 
             
	;;#ASMEND
	;; [unrolled: 5-line block ×16, first 2 shown]
	s_waitcnt lgkmcnt(1)
	;;#ASMSTART
	
             v_fmac_f32 v20, v68, v64 
             
	;;#ASMEND
	;;#ASMSTART
	
             v_fmac_f32 v21, v68, v65 
             
	;;#ASMEND
	;; [unrolled: 5-line block ×16, first 2 shown]
	ds_read_b128 v[68:71], v98 offset:10240
	s_waitcnt lgkmcnt(1)
	;;#ASMSTART
	
             v_fmac_f32 v32, v76, v72 
             
	;;#ASMEND
	;;#ASMSTART
	
             v_fmac_f32 v33, v76, v73 
             
	;;#ASMEND
	;; [unrolled: 5-line block ×16, first 2 shown]
	ds_read_b128 v[72:75], v99 offset:26624
	;;#ASMSTART
	
             v_fmac_f32 v52, v76, v64 
             
	;;#ASMEND
	;;#ASMSTART
	
             v_fmac_f32 v53, v76, v65 
             
	;;#ASMEND
	;; [unrolled: 5-line block ×16, first 2 shown]
	ds_read_b128 v[64:67], v99 offset:26880
	ds_read_b128 v[76:79], v98 offset:10496
	s_waitcnt lgkmcnt(2)
	;;#ASMSTART
	
             v_fmac_f32 v4, v68, v72 
             
	;;#ASMEND
	;;#ASMSTART
	
             v_fmac_f32 v5, v68, v73 
             
	;;#ASMEND
	;; [unrolled: 5-line block ×16, first 2 shown]
	s_waitcnt lgkmcnt(1)
	;;#ASMSTART
	
             v_fmac_f32 v20, v68, v64 
             
	;;#ASMEND
	;;#ASMSTART
	
             v_fmac_f32 v21, v68, v65 
             
	;;#ASMEND
	;; [unrolled: 5-line block ×16, first 2 shown]
	ds_read_b128 v[68:71], v98 offset:10752
	s_waitcnt lgkmcnt(1)
	;;#ASMSTART
	
             v_fmac_f32 v32, v76, v72 
             
	;;#ASMEND
	;;#ASMSTART
	
             v_fmac_f32 v33, v76, v73 
             
	;;#ASMEND
	;; [unrolled: 5-line block ×16, first 2 shown]
	ds_read_b128 v[72:75], v99 offset:27136
	;;#ASMSTART
	
             v_fmac_f32 v52, v76, v64 
             
	;;#ASMEND
	;;#ASMSTART
	
             v_fmac_f32 v53, v76, v65 
             
	;;#ASMEND
	;; [unrolled: 5-line block ×16, first 2 shown]
	ds_read_b128 v[64:67], v99 offset:27392
	ds_read_b128 v[76:79], v98 offset:11008
	s_waitcnt lgkmcnt(2)
	;;#ASMSTART
	
             v_fmac_f32 v4, v68, v72 
             
	;;#ASMEND
	;;#ASMSTART
	
             v_fmac_f32 v5, v68, v73 
             
	;;#ASMEND
	;; [unrolled: 5-line block ×16, first 2 shown]
	s_waitcnt lgkmcnt(1)
	;;#ASMSTART
	
             v_fmac_f32 v20, v68, v64 
             
	;;#ASMEND
	;;#ASMSTART
	
             v_fmac_f32 v21, v68, v65 
             
	;;#ASMEND
	;; [unrolled: 5-line block ×16, first 2 shown]
	ds_read_b128 v[68:71], v98 offset:11264
	s_waitcnt lgkmcnt(1)
	;;#ASMSTART
	
             v_fmac_f32 v32, v76, v72 
             
	;;#ASMEND
	;;#ASMSTART
	
             v_fmac_f32 v33, v76, v73 
             
	;;#ASMEND
	;; [unrolled: 5-line block ×16, first 2 shown]
	ds_read_b128 v[72:75], v99 offset:27648
	;;#ASMSTART
	
             v_fmac_f32 v52, v76, v64 
             
	;;#ASMEND
	;;#ASMSTART
	
             v_fmac_f32 v53, v76, v65 
             
	;;#ASMEND
	;; [unrolled: 5-line block ×16, first 2 shown]
	ds_read_b128 v[64:67], v99 offset:27904
	ds_read_b128 v[76:79], v98 offset:11520
	s_waitcnt lgkmcnt(2)
	;;#ASMSTART
	
             v_fmac_f32 v4, v68, v72 
             
	;;#ASMEND
	;;#ASMSTART
	
             v_fmac_f32 v5, v68, v73 
             
	;;#ASMEND
	;;#ASMSTART
	
             v_fmac_f32 v6, v68, v74 
             
	;;#ASMEND
	;;#ASMSTART
	
             v_fmac_f32 v7, v68, v75 
             
	;;#ASMEND
	;;#ASMSTART
	
             v_fmac_f32 v8, v69, v72 
             
	;;#ASMEND
	;;#ASMSTART
	
             v_fmac_f32 v9, v69, v73 
             
	;;#ASMEND
	;;#ASMSTART
	
             v_fmac_f32 v10, v69, v74 
             
	;;#ASMEND
	;;#ASMSTART
	
             v_fmac_f32 v11, v69, v75 
             
	;;#ASMEND
	;;#ASMSTART
	
             v_fmac_f32 v12, v70, v72 
             
	;;#ASMEND
	;;#ASMSTART
	
             v_fmac_f32 v13, v70, v73 
             
	;;#ASMEND
	;;#ASMSTART
	
             v_fmac_f32 v14, v70, v74 
             
	;;#ASMEND
	;;#ASMSTART
	
             v_fmac_f32 v15, v70, v75 
             
	;;#ASMEND
	;;#ASMSTART
	
             v_fmac_f32 v16, v71, v72 
             
	;;#ASMEND
	;;#ASMSTART
	
             v_fmac_f32 v17, v71, v73 
             
	;;#ASMEND
	;;#ASMSTART
	
             v_fmac_f32 v18, v71, v74 
             
	;;#ASMEND
	;;#ASMSTART
	
             v_fmac_f32 v19, v71, v75 
             
	;;#ASMEND
	s_waitcnt lgkmcnt(1)
	;;#ASMSTART
	
             v_fmac_f32 v20, v68, v64 
             
	;;#ASMEND
	;;#ASMSTART
	
             v_fmac_f32 v21, v68, v65 
             
	;;#ASMEND
	;; [unrolled: 5-line block ×16, first 2 shown]
	ds_read_b128 v[68:71], v98 offset:11776
	s_waitcnt lgkmcnt(1)
	;;#ASMSTART
	
             v_fmac_f32 v32, v76, v72 
             
	;;#ASMEND
	;;#ASMSTART
	
             v_fmac_f32 v33, v76, v73 
             
	;;#ASMEND
	;; [unrolled: 5-line block ×16, first 2 shown]
	ds_read_b128 v[72:75], v99 offset:28160
	;;#ASMSTART
	
             v_fmac_f32 v52, v76, v64 
             
	;;#ASMEND
	;;#ASMSTART
	
             v_fmac_f32 v53, v76, v65 
             
	;;#ASMEND
	;; [unrolled: 5-line block ×16, first 2 shown]
	ds_read_b128 v[64:67], v99 offset:28416
	ds_read_b128 v[76:79], v98 offset:12032
	s_waitcnt lgkmcnt(2)
	;;#ASMSTART
	
             v_fmac_f32 v4, v68, v72 
             
	;;#ASMEND
	;;#ASMSTART
	
             v_fmac_f32 v5, v68, v73 
             
	;;#ASMEND
	;; [unrolled: 5-line block ×16, first 2 shown]
	s_waitcnt lgkmcnt(1)
	;;#ASMSTART
	
             v_fmac_f32 v20, v68, v64 
             
	;;#ASMEND
	;;#ASMSTART
	
             v_fmac_f32 v21, v68, v65 
             
	;;#ASMEND
	;; [unrolled: 5-line block ×16, first 2 shown]
	ds_read_b128 v[68:71], v98 offset:12288
	s_waitcnt lgkmcnt(1)
	;;#ASMSTART
	
             v_fmac_f32 v32, v76, v72 
             
	;;#ASMEND
	;;#ASMSTART
	
             v_fmac_f32 v33, v76, v73 
             
	;;#ASMEND
	;; [unrolled: 5-line block ×16, first 2 shown]
	ds_read_b128 v[72:75], v99 offset:28672
	;;#ASMSTART
	
             v_fmac_f32 v52, v76, v64 
             
	;;#ASMEND
	;;#ASMSTART
	
             v_fmac_f32 v53, v76, v65 
             
	;;#ASMEND
	;; [unrolled: 5-line block ×16, first 2 shown]
	ds_read_b128 v[64:67], v99 offset:28928
	ds_read_b128 v[76:79], v98 offset:12544
	s_waitcnt lgkmcnt(2)
	;;#ASMSTART
	
             v_fmac_f32 v4, v68, v72 
             
	;;#ASMEND
	;;#ASMSTART
	
             v_fmac_f32 v5, v68, v73 
             
	;;#ASMEND
	;;#ASMSTART
	
             v_fmac_f32 v6, v68, v74 
             
	;;#ASMEND
	;;#ASMSTART
	
             v_fmac_f32 v7, v68, v75 
             
	;;#ASMEND
	;;#ASMSTART
	
             v_fmac_f32 v8, v69, v72 
             
	;;#ASMEND
	;;#ASMSTART
	
             v_fmac_f32 v9, v69, v73 
             
	;;#ASMEND
	;;#ASMSTART
	
             v_fmac_f32 v10, v69, v74 
             
	;;#ASMEND
	;;#ASMSTART
	
             v_fmac_f32 v11, v69, v75 
             
	;;#ASMEND
	;;#ASMSTART
	
             v_fmac_f32 v12, v70, v72 
             
	;;#ASMEND
	;;#ASMSTART
	
             v_fmac_f32 v13, v70, v73 
             
	;;#ASMEND
	;;#ASMSTART
	
             v_fmac_f32 v14, v70, v74 
             
	;;#ASMEND
	;;#ASMSTART
	
             v_fmac_f32 v15, v70, v75 
             
	;;#ASMEND
	;;#ASMSTART
	
             v_fmac_f32 v16, v71, v72 
             
	;;#ASMEND
	;;#ASMSTART
	
             v_fmac_f32 v17, v71, v73 
             
	;;#ASMEND
	;;#ASMSTART
	
             v_fmac_f32 v18, v71, v74 
             
	;;#ASMEND
	;;#ASMSTART
	
             v_fmac_f32 v19, v71, v75 
             
	;;#ASMEND
	s_waitcnt lgkmcnt(1)
	;;#ASMSTART
	
             v_fmac_f32 v20, v68, v64 
             
	;;#ASMEND
	;;#ASMSTART
	
             v_fmac_f32 v21, v68, v65 
             
	;;#ASMEND
	;;#ASMSTART
	
             v_fmac_f32 v22, v68, v66 
             
	;;#ASMEND
	;;#ASMSTART
	
             v_fmac_f32 v23, v68, v67 
             
	;;#ASMEND
	;;#ASMSTART
	
             v_fmac_f32 v24, v69, v64 
             
	;;#ASMEND
	;;#ASMSTART
	
             v_fmac_f32 v25, v69, v65 
             
	;;#ASMEND
	;;#ASMSTART
	
             v_fmac_f32 v26, v69, v66 
             
	;;#ASMEND
	;;#ASMSTART
	
             v_fmac_f32 v27, v69, v67 
             
	;;#ASMEND
	;;#ASMSTART
	
             v_fmac_f32 v28, v70, v64 
             
	;;#ASMEND
	;;#ASMSTART
	
             v_fmac_f32 v29, v70, v65 
             
	;;#ASMEND
	;;#ASMSTART
	
             v_fmac_f32 v30, v70, v66 
             
	;;#ASMEND
	;;#ASMSTART
	
             v_fmac_f32 v31, v70, v67 
             
	;;#ASMEND
	;;#ASMSTART
	
             v_fmac_f32 v36, v71, v64 
             
	;;#ASMEND
	;;#ASMSTART
	
             v_fmac_f32 v37, v71, v65 
             
	;;#ASMEND
	;;#ASMSTART
	
             v_fmac_f32 v38, v71, v66 
             
	;;#ASMEND
	;;#ASMSTART
	
             v_fmac_f32 v39, v71, v67 
             
	;;#ASMEND
	ds_read_b128 v[68:71], v98 offset:12800
	s_waitcnt lgkmcnt(1)
	;;#ASMSTART
	
             v_fmac_f32 v32, v76, v72 
             
	;;#ASMEND
	;;#ASMSTART
	
             v_fmac_f32 v33, v76, v73 
             
	;;#ASMEND
	;; [unrolled: 5-line block ×16, first 2 shown]
	ds_read_b128 v[72:75], v99 offset:29184
	;;#ASMSTART
	
             v_fmac_f32 v52, v76, v64 
             
	;;#ASMEND
	;;#ASMSTART
	
             v_fmac_f32 v53, v76, v65 
             
	;;#ASMEND
	;; [unrolled: 5-line block ×16, first 2 shown]
	ds_read_b128 v[64:67], v99 offset:29440
	ds_read_b128 v[76:79], v98 offset:13056
	s_waitcnt lgkmcnt(2)
	;;#ASMSTART
	
             v_fmac_f32 v4, v68, v72 
             
	;;#ASMEND
	;;#ASMSTART
	
             v_fmac_f32 v5, v68, v73 
             
	;;#ASMEND
	;; [unrolled: 5-line block ×16, first 2 shown]
	s_waitcnt lgkmcnt(1)
	;;#ASMSTART
	
             v_fmac_f32 v20, v68, v64 
             
	;;#ASMEND
	;;#ASMSTART
	
             v_fmac_f32 v21, v68, v65 
             
	;;#ASMEND
	;; [unrolled: 5-line block ×16, first 2 shown]
	ds_read_b128 v[68:71], v98 offset:13312
	s_waitcnt lgkmcnt(1)
	;;#ASMSTART
	
             v_fmac_f32 v32, v76, v72 
             
	;;#ASMEND
	;;#ASMSTART
	
             v_fmac_f32 v33, v76, v73 
             
	;;#ASMEND
	;; [unrolled: 5-line block ×16, first 2 shown]
	ds_read_b128 v[72:75], v99 offset:29696
	;;#ASMSTART
	
             v_fmac_f32 v52, v76, v64 
             
	;;#ASMEND
	;;#ASMSTART
	
             v_fmac_f32 v53, v76, v65 
             
	;;#ASMEND
	;; [unrolled: 5-line block ×16, first 2 shown]
	ds_read_b128 v[64:67], v99 offset:29952
	ds_read_b128 v[76:79], v98 offset:13568
	s_waitcnt lgkmcnt(2)
	;;#ASMSTART
	
             v_fmac_f32 v4, v68, v72 
             
	;;#ASMEND
	;;#ASMSTART
	
             v_fmac_f32 v5, v68, v73 
             
	;;#ASMEND
	;; [unrolled: 5-line block ×16, first 2 shown]
	s_waitcnt lgkmcnt(1)
	;;#ASMSTART
	
             v_fmac_f32 v20, v68, v64 
             
	;;#ASMEND
	;;#ASMSTART
	
             v_fmac_f32 v21, v68, v65 
             
	;;#ASMEND
	;; [unrolled: 5-line block ×16, first 2 shown]
	ds_read_b128 v[68:71], v98 offset:13824
	s_waitcnt lgkmcnt(1)
	;;#ASMSTART
	
             v_fmac_f32 v32, v76, v72 
             
	;;#ASMEND
	;;#ASMSTART
	
             v_fmac_f32 v33, v76, v73 
             
	;;#ASMEND
	;; [unrolled: 5-line block ×16, first 2 shown]
	ds_read_b128 v[72:75], v99 offset:30208
	;;#ASMSTART
	
             v_fmac_f32 v52, v76, v64 
             
	;;#ASMEND
	;;#ASMSTART
	
             v_fmac_f32 v53, v76, v65 
             
	;;#ASMEND
	;; [unrolled: 5-line block ×16, first 2 shown]
	ds_read_b128 v[64:67], v99 offset:30464
	ds_read_b128 v[76:79], v98 offset:14080
	s_waitcnt lgkmcnt(2)
	;;#ASMSTART
	
             v_fmac_f32 v4, v68, v72 
             
	;;#ASMEND
	;;#ASMSTART
	
             v_fmac_f32 v5, v68, v73 
             
	;;#ASMEND
	;;#ASMSTART
	
             v_fmac_f32 v6, v68, v74 
             
	;;#ASMEND
	;;#ASMSTART
	
             v_fmac_f32 v7, v68, v75 
             
	;;#ASMEND
	;;#ASMSTART
	
             v_fmac_f32 v8, v69, v72 
             
	;;#ASMEND
	;;#ASMSTART
	
             v_fmac_f32 v9, v69, v73 
             
	;;#ASMEND
	;;#ASMSTART
	
             v_fmac_f32 v10, v69, v74 
             
	;;#ASMEND
	;;#ASMSTART
	
             v_fmac_f32 v11, v69, v75 
             
	;;#ASMEND
	;;#ASMSTART
	
             v_fmac_f32 v12, v70, v72 
             
	;;#ASMEND
	;;#ASMSTART
	
             v_fmac_f32 v13, v70, v73 
             
	;;#ASMEND
	;;#ASMSTART
	
             v_fmac_f32 v14, v70, v74 
             
	;;#ASMEND
	;;#ASMSTART
	
             v_fmac_f32 v15, v70, v75 
             
	;;#ASMEND
	;;#ASMSTART
	
             v_fmac_f32 v16, v71, v72 
             
	;;#ASMEND
	;;#ASMSTART
	
             v_fmac_f32 v17, v71, v73 
             
	;;#ASMEND
	;;#ASMSTART
	
             v_fmac_f32 v18, v71, v74 
             
	;;#ASMEND
	;;#ASMSTART
	
             v_fmac_f32 v19, v71, v75 
             
	;;#ASMEND
	s_waitcnt lgkmcnt(1)
	;;#ASMSTART
	
             v_fmac_f32 v20, v68, v64 
             
	;;#ASMEND
	;;#ASMSTART
	
             v_fmac_f32 v21, v68, v65 
             
	;;#ASMEND
	;; [unrolled: 5-line block ×16, first 2 shown]
	ds_read_b128 v[68:71], v98 offset:14336
	s_waitcnt lgkmcnt(1)
	;;#ASMSTART
	
             v_fmac_f32 v32, v76, v72 
             
	;;#ASMEND
	;;#ASMSTART
	
             v_fmac_f32 v33, v76, v73 
             
	;;#ASMEND
	;; [unrolled: 5-line block ×16, first 2 shown]
	ds_read_b128 v[72:75], v99 offset:30720
	;;#ASMSTART
	
             v_fmac_f32 v52, v76, v64 
             
	;;#ASMEND
	;;#ASMSTART
	
             v_fmac_f32 v53, v76, v65 
             
	;;#ASMEND
	;; [unrolled: 5-line block ×16, first 2 shown]
	ds_read_b128 v[64:67], v99 offset:30976
	ds_read_b128 v[76:79], v98 offset:14592
	s_waitcnt lgkmcnt(2)
	;;#ASMSTART
	
             v_fmac_f32 v4, v68, v72 
             
	;;#ASMEND
	;;#ASMSTART
	
             v_fmac_f32 v5, v68, v73 
             
	;;#ASMEND
	;; [unrolled: 5-line block ×16, first 2 shown]
	s_waitcnt lgkmcnt(1)
	;;#ASMSTART
	
             v_fmac_f32 v20, v68, v64 
             
	;;#ASMEND
	;;#ASMSTART
	
             v_fmac_f32 v21, v68, v65 
             
	;;#ASMEND
	;; [unrolled: 5-line block ×16, first 2 shown]
	ds_read_b128 v[68:71], v98 offset:14848
	s_waitcnt lgkmcnt(1)
	;;#ASMSTART
	
             v_fmac_f32 v32, v76, v72 
             
	;;#ASMEND
	;;#ASMSTART
	
             v_fmac_f32 v33, v76, v73 
             
	;;#ASMEND
	;; [unrolled: 5-line block ×16, first 2 shown]
	ds_read_b128 v[72:75], v99 offset:31232
	;;#ASMSTART
	
             v_fmac_f32 v52, v76, v64 
             
	;;#ASMEND
	;;#ASMSTART
	
             v_fmac_f32 v53, v76, v65 
             
	;;#ASMEND
	;; [unrolled: 5-line block ×16, first 2 shown]
	ds_read_b128 v[64:67], v99 offset:31488
	ds_read_b128 v[76:79], v98 offset:15104
	s_waitcnt lgkmcnt(2)
	;;#ASMSTART
	
             v_fmac_f32 v4, v68, v72 
             
	;;#ASMEND
	;;#ASMSTART
	
             v_fmac_f32 v5, v68, v73 
             
	;;#ASMEND
	;; [unrolled: 5-line block ×16, first 2 shown]
	s_waitcnt lgkmcnt(1)
	;;#ASMSTART
	
             v_fmac_f32 v20, v68, v64 
             
	;;#ASMEND
	;;#ASMSTART
	
             v_fmac_f32 v21, v68, v65 
             
	;;#ASMEND
	;;#ASMSTART
	
             v_fmac_f32 v22, v68, v66 
             
	;;#ASMEND
	;;#ASMSTART
	
             v_fmac_f32 v23, v68, v67 
             
	;;#ASMEND
	;;#ASMSTART
	
             v_fmac_f32 v24, v69, v64 
             
	;;#ASMEND
	;;#ASMSTART
	
             v_fmac_f32 v25, v69, v65 
             
	;;#ASMEND
	;;#ASMSTART
	
             v_fmac_f32 v26, v69, v66 
             
	;;#ASMEND
	;;#ASMSTART
	
             v_fmac_f32 v27, v69, v67 
             
	;;#ASMEND
	;;#ASMSTART
	
             v_fmac_f32 v28, v70, v64 
             
	;;#ASMEND
	;;#ASMSTART
	
             v_fmac_f32 v29, v70, v65 
             
	;;#ASMEND
	;;#ASMSTART
	
             v_fmac_f32 v30, v70, v66 
             
	;;#ASMEND
	;;#ASMSTART
	
             v_fmac_f32 v31, v70, v67 
             
	;;#ASMEND
	;;#ASMSTART
	
             v_fmac_f32 v36, v71, v64 
             
	;;#ASMEND
	;;#ASMSTART
	
             v_fmac_f32 v37, v71, v65 
             
	;;#ASMEND
	;;#ASMSTART
	
             v_fmac_f32 v38, v71, v66 
             
	;;#ASMEND
	;;#ASMSTART
	
             v_fmac_f32 v39, v71, v67 
             
	;;#ASMEND
	ds_read_b128 v[68:71], v98 offset:15360
	s_waitcnt lgkmcnt(1)
	;;#ASMSTART
	
             v_fmac_f32 v32, v76, v72 
             
	;;#ASMEND
	;;#ASMSTART
	
             v_fmac_f32 v33, v76, v73 
             
	;;#ASMEND
	;; [unrolled: 5-line block ×16, first 2 shown]
	ds_read_b128 v[72:75], v99 offset:31744
	;;#ASMSTART
	
             v_fmac_f32 v52, v76, v64 
             
	;;#ASMEND
	;;#ASMSTART
	
             v_fmac_f32 v53, v76, v65 
             
	;;#ASMEND
	;; [unrolled: 5-line block ×16, first 2 shown]
	ds_read_b128 v[64:67], v99 offset:32000
	ds_read_b128 v[80:83], v98 offset:15616
	s_waitcnt lgkmcnt(2)
	;;#ASMSTART
	
             v_fmac_f32 v4, v68, v72 
             
	;;#ASMEND
	;;#ASMSTART
	
             v_fmac_f32 v5, v68, v73 
             
	;;#ASMEND
	;;#ASMSTART
	
             v_fmac_f32 v6, v68, v74 
             
	;;#ASMEND
	;;#ASMSTART
	
             v_fmac_f32 v7, v68, v75 
             
	;;#ASMEND
	;;#ASMSTART
	
             v_fmac_f32 v8, v69, v72 
             
	;;#ASMEND
	;;#ASMSTART
	
             v_fmac_f32 v9, v69, v73 
             
	;;#ASMEND
	;;#ASMSTART
	
             v_fmac_f32 v10, v69, v74 
             
	;;#ASMEND
	;;#ASMSTART
	
             v_fmac_f32 v11, v69, v75 
             
	;;#ASMEND
	;;#ASMSTART
	
             v_fmac_f32 v12, v70, v72 
             
	;;#ASMEND
	;;#ASMSTART
	
             v_fmac_f32 v13, v70, v73 
             
	;;#ASMEND
	;;#ASMSTART
	
             v_fmac_f32 v14, v70, v74 
             
	;;#ASMEND
	;;#ASMSTART
	
             v_fmac_f32 v15, v70, v75 
             
	;;#ASMEND
	;;#ASMSTART
	
             v_fmac_f32 v16, v71, v72 
             
	;;#ASMEND
	;;#ASMSTART
	
             v_fmac_f32 v17, v71, v73 
             
	;;#ASMEND
	;;#ASMSTART
	
             v_fmac_f32 v18, v71, v74 
             
	;;#ASMEND
	;;#ASMSTART
	
             v_fmac_f32 v19, v71, v75 
             
	;;#ASMEND
	s_waitcnt lgkmcnt(1)
	;;#ASMSTART
	
             v_fmac_f32 v20, v68, v64 
             
	;;#ASMEND
	;;#ASMSTART
	
             v_fmac_f32 v21, v68, v65 
             
	;;#ASMEND
	;; [unrolled: 5-line block ×16, first 2 shown]
	ds_read_b128 v[76:79], v98 offset:15872
	s_waitcnt lgkmcnt(1)
	;;#ASMSTART
	
             v_fmac_f32 v32, v80, v72 
             
	;;#ASMEND
	;;#ASMSTART
	
             v_fmac_f32 v33, v80, v73 
             
	;;#ASMEND
	;; [unrolled: 5-line block ×16, first 2 shown]
	ds_read_b128 v[72:75], v99 offset:32256
	;;#ASMSTART
	
             v_fmac_f32 v52, v80, v64 
             
	;;#ASMEND
	;;#ASMSTART
	
             v_fmac_f32 v53, v80, v65 
             
	;;#ASMEND
	;; [unrolled: 5-line block ×16, first 2 shown]
	ds_read_b128 v[64:67], v99 offset:32512
	ds_read_b128 v[68:71], v98 offset:16128
	s_waitcnt lgkmcnt(2)
	;;#ASMSTART
	
             v_fmac_f32 v4, v76, v72 
             
	;;#ASMEND
	;;#ASMSTART
	
             v_fmac_f32 v5, v76, v73 
             
	;;#ASMEND
	;; [unrolled: 5-line block ×16, first 2 shown]
	s_waitcnt lgkmcnt(1)
	;;#ASMSTART
	
             v_fmac_f32 v20, v76, v64 
             
	;;#ASMEND
	;;#ASMSTART
	
             v_fmac_f32 v21, v76, v65 
             
	;;#ASMEND
	;; [unrolled: 5-line block ×16, first 2 shown]
	s_waitcnt lgkmcnt(0)
	;;#ASMSTART
	
             v_fmac_f32 v32, v68, v72 
             
	;;#ASMEND
	;;#ASMSTART
	
             v_fmac_f32 v33, v68, v73 
             
	;;#ASMEND
	;; [unrolled: 5-line block ×29, first 2 shown]
	v_or_b32_e32 v64, s17, v97
	v_mul_lo_u32 v64, v64, s16
	;;#ASMSTART
	
             v_fmac_f32 v1, v71, v65 
             
	;;#ASMEND
	s_lshl_b32 s2, s2, 2
	s_and_b32 s1, s1, 0xffff
	v_add3_u32 v64, s3, v96, v64
	s_mov_b32 s3, s7
	v_lshlrev_b32_e32 v65, 2, v64
	;;#ASMSTART
	
             v_fmac_f32 v2, v71, v66 
             
	;;#ASMEND
	;;#ASMSTART
	
             v_fmac_f32 v3, v71, v67 
             
	;;#ASMEND
	buffer_store_dwordx4 v[4:7], v65, s[0:3], 0 offen
	s_nop 0
	v_add_u32_e32 v4, 64, v64
	v_lshlrev_b32_e32 v5, 2, v4
	v_add_lshl_u32 v4, v4, s16, 2
	buffer_store_dwordx4 v[20:23], v5, s[0:3], 0 offen
	buffer_store_dwordx4 v[24:27], v4, s[0:3], 0 offen
	v_add_u32_e32 v4, s16, v64
	v_lshlrev_b32_e32 v5, 2, v4
	v_add_u32_e32 v4, s16, v4
	buffer_store_dwordx4 v[8:11], v5, s[0:3], 0 offen
	v_lshlrev_b32_e32 v5, 2, v4
	buffer_store_dwordx4 v[12:15], v5, s[0:3], 0 offen
	v_add_u32_e32 v5, 64, v4
	v_lshlrev_b32_e32 v6, 2, v5
	v_add_lshl_u32 v5, v5, s16, 2
	v_add_u32_e32 v4, s16, v4
	buffer_store_dwordx4 v[28:31], v6, s[0:3], 0 offen
	buffer_store_dwordx4 v[36:39], v5, s[0:3], 0 offen
	v_lshlrev_b32_e32 v5, 2, v4
	v_lshl_add_u32 v4, s16, 6, v4
	buffer_store_dwordx4 v[16:19], v5, s[0:3], 0 offen
	v_lshlrev_b32_e32 v5, 2, v4
	v_add_u32_e32 v4, 64, v4
	buffer_store_dwordx4 v[48:51], v5, s[0:3], 0 offen
	v_lshlrev_b32_e32 v5, 2, v4
	buffer_store_dwordx4 v[0:3], v5, s[0:3], 0 offen
	s_nop 0
	v_subrev_u32_e32 v0, s16, v4
	v_lshlrev_b32_e32 v1, 2, v0
	v_subrev_u32_e32 v0, 64, v0
	buffer_store_dwordx4 v[60:63], v1, s[0:3], 0 offen
	v_lshlrev_b32_e32 v1, 2, v0
	v_subrev_u32_e32 v0, s16, v0
	buffer_store_dwordx4 v[44:47], v1, s[0:3], 0 offen
	v_lshlrev_b32_e32 v1, 2, v0
	v_add_u32_e32 v0, 64, v0
	buffer_store_dwordx4 v[40:43], v1, s[0:3], 0 offen
	v_lshlrev_b32_e32 v1, 2, v0
	v_subrev_u32_e32 v0, s16, v0
	v_lshlrev_b32_e32 v0, 2, v0
	buffer_store_dwordx4 v[56:59], v1, s[0:3], 0 offen
	buffer_store_dwordx4 v[52:55], v0, s[0:3], 0 offen
	v_add_u32_e32 v0, 0xffffff00, v0
	buffer_store_dwordx4 v[32:35], v0, s[0:3], 0 offen
	s_endpgm
	.section	.rodata,"a",@progbits
	.p2align	6, 0x0
	.amdhsa_kernel _ZN2ck19kernel_gemm_dl_v1r3INS_28GridwiseGemmDl_km_kn_mn_v1r3ILi256EfffLNS_25InMemoryDataOperationEnumE0ENS_16TensorDescriptorINS_5TupleIJNS_5EmbedINS4_IJiiEEENS4_IJNS_17integral_constantIiLi1EEEiEEELb0EEENS_7UnMergeINS4_IJiS8_EEELb0EEENS_11PassThroughIiEEEEENS4_IJNS_8SequenceIJLi0EEEENSH_IJLi2EEEENSH_IJLi1EEEEEEENS4_IJNSH_IJLi1ELi2EEEENSH_IJLi3ELi4EEEENSH_IJLi5EEEEEEENSH_IJLi3ELi5ELi4EEEElEENS3_INS4_IJNS5_IS6_SC_Lb0EEESD_SF_EEENS4_IJSI_SK_SJ_EEESP_SQ_lEENS3_INS4_IJSS_SF_SF_EEESU_NS4_IJSM_NSH_IJLi3EEEENSH_IJLi4EEEEEEESN_lEELi128ELi128ELi16ELi1ELi4ELi4ELi1ENSH_IJLi8ELi2EEEES11_NSH_IJLi2ELi1ELi4ELi1EEEENSH_IJLi8ELi1ELi32ELi1EEEENSH_IJLi0ELi3ELi1ELi2EEEES14_NSH_IJLi1ELi1ELi4ELi1EEEES14_S15_S12_S13_S14_S14_S15_S14_S15_NSH_IJLi0ELi1ELi2ELi3ELi4ELi5EEEELi5ELi4EEEffNS3_INS4_IJSA_SD_SF_SF_NSB_INS4_IJiNS7_IiLi128EEEEEELb0EEENSE_IS8_EEEEENS4_IJSI_SJ_SK_SX_SO_SY_EEENS4_IJSM_SN_SO_NSH_IJLi6EEEENSH_IJLi7ELi8EEEENSH_IJLi9EEEEEEENSH_IJLi6ELi7ELi8ELi9EEEElEENS3_INS4_IJSS_SD_SF_SF_S1A_S1B_EEENS4_IJSI_SK_SJ_SX_SO_SY_EEES1H_S1I_lEENS3_INS4_IJSS_SF_SF_NSB_INS4_IJiNS7_IiLi2EEENS7_IiLi64EEEEEELb0EEES1Q_EEENS4_IJSI_SK_SJ_SX_SY_EEENS4_IJSM_SX_SY_NSH_IJLi5ELi6ELi7EEEENSH_IJLi8ELi9ELi10EEEEEEENSH_IJLi5ELi6ELi7ELi8ELi9ELi10EEEElEENS_31BlockToCTileMap_M00_N00_M01_N01ILi128ELi128ES10_Lb0EEELb0ELb1EEEvPKT0_S22_PT1_T2_T3_T4_T5_
		.amdhsa_group_segment_fixed_size 32768
		.amdhsa_private_segment_fixed_size 0
		.amdhsa_kernarg_size 328
		.amdhsa_user_sgpr_count 6
		.amdhsa_user_sgpr_private_segment_buffer 1
		.amdhsa_user_sgpr_dispatch_ptr 0
		.amdhsa_user_sgpr_queue_ptr 0
		.amdhsa_user_sgpr_kernarg_segment_ptr 1
		.amdhsa_user_sgpr_dispatch_id 0
		.amdhsa_user_sgpr_flat_scratch_init 0
		.amdhsa_user_sgpr_private_segment_size 0
		.amdhsa_uses_dynamic_stack 0
		.amdhsa_system_sgpr_private_segment_wavefront_offset 0
		.amdhsa_system_sgpr_workgroup_id_x 1
		.amdhsa_system_sgpr_workgroup_id_y 0
		.amdhsa_system_sgpr_workgroup_id_z 0
		.amdhsa_system_sgpr_workgroup_info 0
		.amdhsa_system_vgpr_workitem_id 0
		.amdhsa_next_free_vgpr 101
		.amdhsa_next_free_sgpr 98
		.amdhsa_reserve_vcc 0
		.amdhsa_reserve_flat_scratch 0
		.amdhsa_float_round_mode_32 0
		.amdhsa_float_round_mode_16_64 0
		.amdhsa_float_denorm_mode_32 3
		.amdhsa_float_denorm_mode_16_64 3
		.amdhsa_dx10_clamp 1
		.amdhsa_ieee_mode 1
		.amdhsa_fp16_overflow 0
		.amdhsa_exception_fp_ieee_invalid_op 0
		.amdhsa_exception_fp_denorm_src 0
		.amdhsa_exception_fp_ieee_div_zero 0
		.amdhsa_exception_fp_ieee_overflow 0
		.amdhsa_exception_fp_ieee_underflow 0
		.amdhsa_exception_fp_ieee_inexact 0
		.amdhsa_exception_int_div_zero 0
	.end_amdhsa_kernel
	.section	.text._ZN2ck19kernel_gemm_dl_v1r3INS_28GridwiseGemmDl_km_kn_mn_v1r3ILi256EfffLNS_25InMemoryDataOperationEnumE0ENS_16TensorDescriptorINS_5TupleIJNS_5EmbedINS4_IJiiEEENS4_IJNS_17integral_constantIiLi1EEEiEEELb0EEENS_7UnMergeINS4_IJiS8_EEELb0EEENS_11PassThroughIiEEEEENS4_IJNS_8SequenceIJLi0EEEENSH_IJLi2EEEENSH_IJLi1EEEEEEENS4_IJNSH_IJLi1ELi2EEEENSH_IJLi3ELi4EEEENSH_IJLi5EEEEEEENSH_IJLi3ELi5ELi4EEEElEENS3_INS4_IJNS5_IS6_SC_Lb0EEESD_SF_EEENS4_IJSI_SK_SJ_EEESP_SQ_lEENS3_INS4_IJSS_SF_SF_EEESU_NS4_IJSM_NSH_IJLi3EEEENSH_IJLi4EEEEEEESN_lEELi128ELi128ELi16ELi1ELi4ELi4ELi1ENSH_IJLi8ELi2EEEES11_NSH_IJLi2ELi1ELi4ELi1EEEENSH_IJLi8ELi1ELi32ELi1EEEENSH_IJLi0ELi3ELi1ELi2EEEES14_NSH_IJLi1ELi1ELi4ELi1EEEES14_S15_S12_S13_S14_S14_S15_S14_S15_NSH_IJLi0ELi1ELi2ELi3ELi4ELi5EEEELi5ELi4EEEffNS3_INS4_IJSA_SD_SF_SF_NSB_INS4_IJiNS7_IiLi128EEEEEELb0EEENSE_IS8_EEEEENS4_IJSI_SJ_SK_SX_SO_SY_EEENS4_IJSM_SN_SO_NSH_IJLi6EEEENSH_IJLi7ELi8EEEENSH_IJLi9EEEEEEENSH_IJLi6ELi7ELi8ELi9EEEElEENS3_INS4_IJSS_SD_SF_SF_S1A_S1B_EEENS4_IJSI_SK_SJ_SX_SO_SY_EEES1H_S1I_lEENS3_INS4_IJSS_SF_SF_NSB_INS4_IJiNS7_IiLi2EEENS7_IiLi64EEEEEELb0EEES1Q_EEENS4_IJSI_SK_SJ_SX_SY_EEENS4_IJSM_SX_SY_NSH_IJLi5ELi6ELi7EEEENSH_IJLi8ELi9ELi10EEEEEEENSH_IJLi5ELi6ELi7ELi8ELi9ELi10EEEElEENS_31BlockToCTileMap_M00_N00_M01_N01ILi128ELi128ES10_Lb0EEELb0ELb1EEEvPKT0_S22_PT1_T2_T3_T4_T5_,"axG",@progbits,_ZN2ck19kernel_gemm_dl_v1r3INS_28GridwiseGemmDl_km_kn_mn_v1r3ILi256EfffLNS_25InMemoryDataOperationEnumE0ENS_16TensorDescriptorINS_5TupleIJNS_5EmbedINS4_IJiiEEENS4_IJNS_17integral_constantIiLi1EEEiEEELb0EEENS_7UnMergeINS4_IJiS8_EEELb0EEENS_11PassThroughIiEEEEENS4_IJNS_8SequenceIJLi0EEEENSH_IJLi2EEEENSH_IJLi1EEEEEEENS4_IJNSH_IJLi1ELi2EEEENSH_IJLi3ELi4EEEENSH_IJLi5EEEEEEENSH_IJLi3ELi5ELi4EEEElEENS3_INS4_IJNS5_IS6_SC_Lb0EEESD_SF_EEENS4_IJSI_SK_SJ_EEESP_SQ_lEENS3_INS4_IJSS_SF_SF_EEESU_NS4_IJSM_NSH_IJLi3EEEENSH_IJLi4EEEEEEESN_lEELi128ELi128ELi16ELi1ELi4ELi4ELi1ENSH_IJLi8ELi2EEEES11_NSH_IJLi2ELi1ELi4ELi1EEEENSH_IJLi8ELi1ELi32ELi1EEEENSH_IJLi0ELi3ELi1ELi2EEEES14_NSH_IJLi1ELi1ELi4ELi1EEEES14_S15_S12_S13_S14_S14_S15_S14_S15_NSH_IJLi0ELi1ELi2ELi3ELi4ELi5EEEELi5ELi4EEEffNS3_INS4_IJSA_SD_SF_SF_NSB_INS4_IJiNS7_IiLi128EEEEEELb0EEENSE_IS8_EEEEENS4_IJSI_SJ_SK_SX_SO_SY_EEENS4_IJSM_SN_SO_NSH_IJLi6EEEENSH_IJLi7ELi8EEEENSH_IJLi9EEEEEEENSH_IJLi6ELi7ELi8ELi9EEEElEENS3_INS4_IJSS_SD_SF_SF_S1A_S1B_EEENS4_IJSI_SK_SJ_SX_SO_SY_EEES1H_S1I_lEENS3_INS4_IJSS_SF_SF_NSB_INS4_IJiNS7_IiLi2EEENS7_IiLi64EEEEEELb0EEES1Q_EEENS4_IJSI_SK_SJ_SX_SY_EEENS4_IJSM_SX_SY_NSH_IJLi5ELi6ELi7EEEENSH_IJLi8ELi9ELi10EEEEEEENSH_IJLi5ELi6ELi7ELi8ELi9ELi10EEEElEENS_31BlockToCTileMap_M00_N00_M01_N01ILi128ELi128ES10_Lb0EEELb0ELb1EEEvPKT0_S22_PT1_T2_T3_T4_T5_,comdat
.Lfunc_end3:
	.size	_ZN2ck19kernel_gemm_dl_v1r3INS_28GridwiseGemmDl_km_kn_mn_v1r3ILi256EfffLNS_25InMemoryDataOperationEnumE0ENS_16TensorDescriptorINS_5TupleIJNS_5EmbedINS4_IJiiEEENS4_IJNS_17integral_constantIiLi1EEEiEEELb0EEENS_7UnMergeINS4_IJiS8_EEELb0EEENS_11PassThroughIiEEEEENS4_IJNS_8SequenceIJLi0EEEENSH_IJLi2EEEENSH_IJLi1EEEEEEENS4_IJNSH_IJLi1ELi2EEEENSH_IJLi3ELi4EEEENSH_IJLi5EEEEEEENSH_IJLi3ELi5ELi4EEEElEENS3_INS4_IJNS5_IS6_SC_Lb0EEESD_SF_EEENS4_IJSI_SK_SJ_EEESP_SQ_lEENS3_INS4_IJSS_SF_SF_EEESU_NS4_IJSM_NSH_IJLi3EEEENSH_IJLi4EEEEEEESN_lEELi128ELi128ELi16ELi1ELi4ELi4ELi1ENSH_IJLi8ELi2EEEES11_NSH_IJLi2ELi1ELi4ELi1EEEENSH_IJLi8ELi1ELi32ELi1EEEENSH_IJLi0ELi3ELi1ELi2EEEES14_NSH_IJLi1ELi1ELi4ELi1EEEES14_S15_S12_S13_S14_S14_S15_S14_S15_NSH_IJLi0ELi1ELi2ELi3ELi4ELi5EEEELi5ELi4EEEffNS3_INS4_IJSA_SD_SF_SF_NSB_INS4_IJiNS7_IiLi128EEEEEELb0EEENSE_IS8_EEEEENS4_IJSI_SJ_SK_SX_SO_SY_EEENS4_IJSM_SN_SO_NSH_IJLi6EEEENSH_IJLi7ELi8EEEENSH_IJLi9EEEEEEENSH_IJLi6ELi7ELi8ELi9EEEElEENS3_INS4_IJSS_SD_SF_SF_S1A_S1B_EEENS4_IJSI_SK_SJ_SX_SO_SY_EEES1H_S1I_lEENS3_INS4_IJSS_SF_SF_NSB_INS4_IJiNS7_IiLi2EEENS7_IiLi64EEEEEELb0EEES1Q_EEENS4_IJSI_SK_SJ_SX_SY_EEENS4_IJSM_SX_SY_NSH_IJLi5ELi6ELi7EEEENSH_IJLi8ELi9ELi10EEEEEEENSH_IJLi5ELi6ELi7ELi8ELi9ELi10EEEElEENS_31BlockToCTileMap_M00_N00_M01_N01ILi128ELi128ES10_Lb0EEELb0ELb1EEEvPKT0_S22_PT1_T2_T3_T4_T5_, .Lfunc_end3-_ZN2ck19kernel_gemm_dl_v1r3INS_28GridwiseGemmDl_km_kn_mn_v1r3ILi256EfffLNS_25InMemoryDataOperationEnumE0ENS_16TensorDescriptorINS_5TupleIJNS_5EmbedINS4_IJiiEEENS4_IJNS_17integral_constantIiLi1EEEiEEELb0EEENS_7UnMergeINS4_IJiS8_EEELb0EEENS_11PassThroughIiEEEEENS4_IJNS_8SequenceIJLi0EEEENSH_IJLi2EEEENSH_IJLi1EEEEEEENS4_IJNSH_IJLi1ELi2EEEENSH_IJLi3ELi4EEEENSH_IJLi5EEEEEEENSH_IJLi3ELi5ELi4EEEElEENS3_INS4_IJNS5_IS6_SC_Lb0EEESD_SF_EEENS4_IJSI_SK_SJ_EEESP_SQ_lEENS3_INS4_IJSS_SF_SF_EEESU_NS4_IJSM_NSH_IJLi3EEEENSH_IJLi4EEEEEEESN_lEELi128ELi128ELi16ELi1ELi4ELi4ELi1ENSH_IJLi8ELi2EEEES11_NSH_IJLi2ELi1ELi4ELi1EEEENSH_IJLi8ELi1ELi32ELi1EEEENSH_IJLi0ELi3ELi1ELi2EEEES14_NSH_IJLi1ELi1ELi4ELi1EEEES14_S15_S12_S13_S14_S14_S15_S14_S15_NSH_IJLi0ELi1ELi2ELi3ELi4ELi5EEEELi5ELi4EEEffNS3_INS4_IJSA_SD_SF_SF_NSB_INS4_IJiNS7_IiLi128EEEEEELb0EEENSE_IS8_EEEEENS4_IJSI_SJ_SK_SX_SO_SY_EEENS4_IJSM_SN_SO_NSH_IJLi6EEEENSH_IJLi7ELi8EEEENSH_IJLi9EEEEEEENSH_IJLi6ELi7ELi8ELi9EEEElEENS3_INS4_IJSS_SD_SF_SF_S1A_S1B_EEENS4_IJSI_SK_SJ_SX_SO_SY_EEES1H_S1I_lEENS3_INS4_IJSS_SF_SF_NSB_INS4_IJiNS7_IiLi2EEENS7_IiLi64EEEEEELb0EEES1Q_EEENS4_IJSI_SK_SJ_SX_SY_EEENS4_IJSM_SX_SY_NSH_IJLi5ELi6ELi7EEEENSH_IJLi8ELi9ELi10EEEEEEENSH_IJLi5ELi6ELi7ELi8ELi9ELi10EEEElEENS_31BlockToCTileMap_M00_N00_M01_N01ILi128ELi128ES10_Lb0EEELb0ELb1EEEvPKT0_S22_PT1_T2_T3_T4_T5_
                                        ; -- End function
	.set _ZN2ck19kernel_gemm_dl_v1r3INS_28GridwiseGemmDl_km_kn_mn_v1r3ILi256EfffLNS_25InMemoryDataOperationEnumE0ENS_16TensorDescriptorINS_5TupleIJNS_5EmbedINS4_IJiiEEENS4_IJNS_17integral_constantIiLi1EEEiEEELb0EEENS_7UnMergeINS4_IJiS8_EEELb0EEENS_11PassThroughIiEEEEENS4_IJNS_8SequenceIJLi0EEEENSH_IJLi2EEEENSH_IJLi1EEEEEEENS4_IJNSH_IJLi1ELi2EEEENSH_IJLi3ELi4EEEENSH_IJLi5EEEEEEENSH_IJLi3ELi5ELi4EEEElEENS3_INS4_IJNS5_IS6_SC_Lb0EEESD_SF_EEENS4_IJSI_SK_SJ_EEESP_SQ_lEENS3_INS4_IJSS_SF_SF_EEESU_NS4_IJSM_NSH_IJLi3EEEENSH_IJLi4EEEEEEESN_lEELi128ELi128ELi16ELi1ELi4ELi4ELi1ENSH_IJLi8ELi2EEEES11_NSH_IJLi2ELi1ELi4ELi1EEEENSH_IJLi8ELi1ELi32ELi1EEEENSH_IJLi0ELi3ELi1ELi2EEEES14_NSH_IJLi1ELi1ELi4ELi1EEEES14_S15_S12_S13_S14_S14_S15_S14_S15_NSH_IJLi0ELi1ELi2ELi3ELi4ELi5EEEELi5ELi4EEEffNS3_INS4_IJSA_SD_SF_SF_NSB_INS4_IJiNS7_IiLi128EEEEEELb0EEENSE_IS8_EEEEENS4_IJSI_SJ_SK_SX_SO_SY_EEENS4_IJSM_SN_SO_NSH_IJLi6EEEENSH_IJLi7ELi8EEEENSH_IJLi9EEEEEEENSH_IJLi6ELi7ELi8ELi9EEEElEENS3_INS4_IJSS_SD_SF_SF_S1A_S1B_EEENS4_IJSI_SK_SJ_SX_SO_SY_EEES1H_S1I_lEENS3_INS4_IJSS_SF_SF_NSB_INS4_IJiNS7_IiLi2EEENS7_IiLi64EEEEEELb0EEES1Q_EEENS4_IJSI_SK_SJ_SX_SY_EEENS4_IJSM_SX_SY_NSH_IJLi5ELi6ELi7EEEENSH_IJLi8ELi9ELi10EEEEEEENSH_IJLi5ELi6ELi7ELi8ELi9ELi10EEEElEENS_31BlockToCTileMap_M00_N00_M01_N01ILi128ELi128ES10_Lb0EEELb0ELb1EEEvPKT0_S22_PT1_T2_T3_T4_T5_.num_vgpr, 101
	.set _ZN2ck19kernel_gemm_dl_v1r3INS_28GridwiseGemmDl_km_kn_mn_v1r3ILi256EfffLNS_25InMemoryDataOperationEnumE0ENS_16TensorDescriptorINS_5TupleIJNS_5EmbedINS4_IJiiEEENS4_IJNS_17integral_constantIiLi1EEEiEEELb0EEENS_7UnMergeINS4_IJiS8_EEELb0EEENS_11PassThroughIiEEEEENS4_IJNS_8SequenceIJLi0EEEENSH_IJLi2EEEENSH_IJLi1EEEEEEENS4_IJNSH_IJLi1ELi2EEEENSH_IJLi3ELi4EEEENSH_IJLi5EEEEEEENSH_IJLi3ELi5ELi4EEEElEENS3_INS4_IJNS5_IS6_SC_Lb0EEESD_SF_EEENS4_IJSI_SK_SJ_EEESP_SQ_lEENS3_INS4_IJSS_SF_SF_EEESU_NS4_IJSM_NSH_IJLi3EEEENSH_IJLi4EEEEEEESN_lEELi128ELi128ELi16ELi1ELi4ELi4ELi1ENSH_IJLi8ELi2EEEES11_NSH_IJLi2ELi1ELi4ELi1EEEENSH_IJLi8ELi1ELi32ELi1EEEENSH_IJLi0ELi3ELi1ELi2EEEES14_NSH_IJLi1ELi1ELi4ELi1EEEES14_S15_S12_S13_S14_S14_S15_S14_S15_NSH_IJLi0ELi1ELi2ELi3ELi4ELi5EEEELi5ELi4EEEffNS3_INS4_IJSA_SD_SF_SF_NSB_INS4_IJiNS7_IiLi128EEEEEELb0EEENSE_IS8_EEEEENS4_IJSI_SJ_SK_SX_SO_SY_EEENS4_IJSM_SN_SO_NSH_IJLi6EEEENSH_IJLi7ELi8EEEENSH_IJLi9EEEEEEENSH_IJLi6ELi7ELi8ELi9EEEElEENS3_INS4_IJSS_SD_SF_SF_S1A_S1B_EEENS4_IJSI_SK_SJ_SX_SO_SY_EEES1H_S1I_lEENS3_INS4_IJSS_SF_SF_NSB_INS4_IJiNS7_IiLi2EEENS7_IiLi64EEEEEELb0EEES1Q_EEENS4_IJSI_SK_SJ_SX_SY_EEENS4_IJSM_SX_SY_NSH_IJLi5ELi6ELi7EEEENSH_IJLi8ELi9ELi10EEEEEEENSH_IJLi5ELi6ELi7ELi8ELi9ELi10EEEElEENS_31BlockToCTileMap_M00_N00_M01_N01ILi128ELi128ES10_Lb0EEELb0ELb1EEEvPKT0_S22_PT1_T2_T3_T4_T5_.num_agpr, 0
	.set _ZN2ck19kernel_gemm_dl_v1r3INS_28GridwiseGemmDl_km_kn_mn_v1r3ILi256EfffLNS_25InMemoryDataOperationEnumE0ENS_16TensorDescriptorINS_5TupleIJNS_5EmbedINS4_IJiiEEENS4_IJNS_17integral_constantIiLi1EEEiEEELb0EEENS_7UnMergeINS4_IJiS8_EEELb0EEENS_11PassThroughIiEEEEENS4_IJNS_8SequenceIJLi0EEEENSH_IJLi2EEEENSH_IJLi1EEEEEEENS4_IJNSH_IJLi1ELi2EEEENSH_IJLi3ELi4EEEENSH_IJLi5EEEEEEENSH_IJLi3ELi5ELi4EEEElEENS3_INS4_IJNS5_IS6_SC_Lb0EEESD_SF_EEENS4_IJSI_SK_SJ_EEESP_SQ_lEENS3_INS4_IJSS_SF_SF_EEESU_NS4_IJSM_NSH_IJLi3EEEENSH_IJLi4EEEEEEESN_lEELi128ELi128ELi16ELi1ELi4ELi4ELi1ENSH_IJLi8ELi2EEEES11_NSH_IJLi2ELi1ELi4ELi1EEEENSH_IJLi8ELi1ELi32ELi1EEEENSH_IJLi0ELi3ELi1ELi2EEEES14_NSH_IJLi1ELi1ELi4ELi1EEEES14_S15_S12_S13_S14_S14_S15_S14_S15_NSH_IJLi0ELi1ELi2ELi3ELi4ELi5EEEELi5ELi4EEEffNS3_INS4_IJSA_SD_SF_SF_NSB_INS4_IJiNS7_IiLi128EEEEEELb0EEENSE_IS8_EEEEENS4_IJSI_SJ_SK_SX_SO_SY_EEENS4_IJSM_SN_SO_NSH_IJLi6EEEENSH_IJLi7ELi8EEEENSH_IJLi9EEEEEEENSH_IJLi6ELi7ELi8ELi9EEEElEENS3_INS4_IJSS_SD_SF_SF_S1A_S1B_EEENS4_IJSI_SK_SJ_SX_SO_SY_EEES1H_S1I_lEENS3_INS4_IJSS_SF_SF_NSB_INS4_IJiNS7_IiLi2EEENS7_IiLi64EEEEEELb0EEES1Q_EEENS4_IJSI_SK_SJ_SX_SY_EEENS4_IJSM_SX_SY_NSH_IJLi5ELi6ELi7EEEENSH_IJLi8ELi9ELi10EEEEEEENSH_IJLi5ELi6ELi7ELi8ELi9ELi10EEEElEENS_31BlockToCTileMap_M00_N00_M01_N01ILi128ELi128ES10_Lb0EEELb0ELb1EEEvPKT0_S22_PT1_T2_T3_T4_T5_.numbered_sgpr, 29
	.set _ZN2ck19kernel_gemm_dl_v1r3INS_28GridwiseGemmDl_km_kn_mn_v1r3ILi256EfffLNS_25InMemoryDataOperationEnumE0ENS_16TensorDescriptorINS_5TupleIJNS_5EmbedINS4_IJiiEEENS4_IJNS_17integral_constantIiLi1EEEiEEELb0EEENS_7UnMergeINS4_IJiS8_EEELb0EEENS_11PassThroughIiEEEEENS4_IJNS_8SequenceIJLi0EEEENSH_IJLi2EEEENSH_IJLi1EEEEEEENS4_IJNSH_IJLi1ELi2EEEENSH_IJLi3ELi4EEEENSH_IJLi5EEEEEEENSH_IJLi3ELi5ELi4EEEElEENS3_INS4_IJNS5_IS6_SC_Lb0EEESD_SF_EEENS4_IJSI_SK_SJ_EEESP_SQ_lEENS3_INS4_IJSS_SF_SF_EEESU_NS4_IJSM_NSH_IJLi3EEEENSH_IJLi4EEEEEEESN_lEELi128ELi128ELi16ELi1ELi4ELi4ELi1ENSH_IJLi8ELi2EEEES11_NSH_IJLi2ELi1ELi4ELi1EEEENSH_IJLi8ELi1ELi32ELi1EEEENSH_IJLi0ELi3ELi1ELi2EEEES14_NSH_IJLi1ELi1ELi4ELi1EEEES14_S15_S12_S13_S14_S14_S15_S14_S15_NSH_IJLi0ELi1ELi2ELi3ELi4ELi5EEEELi5ELi4EEEffNS3_INS4_IJSA_SD_SF_SF_NSB_INS4_IJiNS7_IiLi128EEEEEELb0EEENSE_IS8_EEEEENS4_IJSI_SJ_SK_SX_SO_SY_EEENS4_IJSM_SN_SO_NSH_IJLi6EEEENSH_IJLi7ELi8EEEENSH_IJLi9EEEEEEENSH_IJLi6ELi7ELi8ELi9EEEElEENS3_INS4_IJSS_SD_SF_SF_S1A_S1B_EEENS4_IJSI_SK_SJ_SX_SO_SY_EEES1H_S1I_lEENS3_INS4_IJSS_SF_SF_NSB_INS4_IJiNS7_IiLi2EEENS7_IiLi64EEEEEELb0EEES1Q_EEENS4_IJSI_SK_SJ_SX_SY_EEENS4_IJSM_SX_SY_NSH_IJLi5ELi6ELi7EEEENSH_IJLi8ELi9ELi10EEEEEEENSH_IJLi5ELi6ELi7ELi8ELi9ELi10EEEElEENS_31BlockToCTileMap_M00_N00_M01_N01ILi128ELi128ES10_Lb0EEELb0ELb1EEEvPKT0_S22_PT1_T2_T3_T4_T5_.num_named_barrier, 0
	.set _ZN2ck19kernel_gemm_dl_v1r3INS_28GridwiseGemmDl_km_kn_mn_v1r3ILi256EfffLNS_25InMemoryDataOperationEnumE0ENS_16TensorDescriptorINS_5TupleIJNS_5EmbedINS4_IJiiEEENS4_IJNS_17integral_constantIiLi1EEEiEEELb0EEENS_7UnMergeINS4_IJiS8_EEELb0EEENS_11PassThroughIiEEEEENS4_IJNS_8SequenceIJLi0EEEENSH_IJLi2EEEENSH_IJLi1EEEEEEENS4_IJNSH_IJLi1ELi2EEEENSH_IJLi3ELi4EEEENSH_IJLi5EEEEEEENSH_IJLi3ELi5ELi4EEEElEENS3_INS4_IJNS5_IS6_SC_Lb0EEESD_SF_EEENS4_IJSI_SK_SJ_EEESP_SQ_lEENS3_INS4_IJSS_SF_SF_EEESU_NS4_IJSM_NSH_IJLi3EEEENSH_IJLi4EEEEEEESN_lEELi128ELi128ELi16ELi1ELi4ELi4ELi1ENSH_IJLi8ELi2EEEES11_NSH_IJLi2ELi1ELi4ELi1EEEENSH_IJLi8ELi1ELi32ELi1EEEENSH_IJLi0ELi3ELi1ELi2EEEES14_NSH_IJLi1ELi1ELi4ELi1EEEES14_S15_S12_S13_S14_S14_S15_S14_S15_NSH_IJLi0ELi1ELi2ELi3ELi4ELi5EEEELi5ELi4EEEffNS3_INS4_IJSA_SD_SF_SF_NSB_INS4_IJiNS7_IiLi128EEEEEELb0EEENSE_IS8_EEEEENS4_IJSI_SJ_SK_SX_SO_SY_EEENS4_IJSM_SN_SO_NSH_IJLi6EEEENSH_IJLi7ELi8EEEENSH_IJLi9EEEEEEENSH_IJLi6ELi7ELi8ELi9EEEElEENS3_INS4_IJSS_SD_SF_SF_S1A_S1B_EEENS4_IJSI_SK_SJ_SX_SO_SY_EEES1H_S1I_lEENS3_INS4_IJSS_SF_SF_NSB_INS4_IJiNS7_IiLi2EEENS7_IiLi64EEEEEELb0EEES1Q_EEENS4_IJSI_SK_SJ_SX_SY_EEENS4_IJSM_SX_SY_NSH_IJLi5ELi6ELi7EEEENSH_IJLi8ELi9ELi10EEEEEEENSH_IJLi5ELi6ELi7ELi8ELi9ELi10EEEElEENS_31BlockToCTileMap_M00_N00_M01_N01ILi128ELi128ES10_Lb0EEELb0ELb1EEEvPKT0_S22_PT1_T2_T3_T4_T5_.private_seg_size, 0
	.set _ZN2ck19kernel_gemm_dl_v1r3INS_28GridwiseGemmDl_km_kn_mn_v1r3ILi256EfffLNS_25InMemoryDataOperationEnumE0ENS_16TensorDescriptorINS_5TupleIJNS_5EmbedINS4_IJiiEEENS4_IJNS_17integral_constantIiLi1EEEiEEELb0EEENS_7UnMergeINS4_IJiS8_EEELb0EEENS_11PassThroughIiEEEEENS4_IJNS_8SequenceIJLi0EEEENSH_IJLi2EEEENSH_IJLi1EEEEEEENS4_IJNSH_IJLi1ELi2EEEENSH_IJLi3ELi4EEEENSH_IJLi5EEEEEEENSH_IJLi3ELi5ELi4EEEElEENS3_INS4_IJNS5_IS6_SC_Lb0EEESD_SF_EEENS4_IJSI_SK_SJ_EEESP_SQ_lEENS3_INS4_IJSS_SF_SF_EEESU_NS4_IJSM_NSH_IJLi3EEEENSH_IJLi4EEEEEEESN_lEELi128ELi128ELi16ELi1ELi4ELi4ELi1ENSH_IJLi8ELi2EEEES11_NSH_IJLi2ELi1ELi4ELi1EEEENSH_IJLi8ELi1ELi32ELi1EEEENSH_IJLi0ELi3ELi1ELi2EEEES14_NSH_IJLi1ELi1ELi4ELi1EEEES14_S15_S12_S13_S14_S14_S15_S14_S15_NSH_IJLi0ELi1ELi2ELi3ELi4ELi5EEEELi5ELi4EEEffNS3_INS4_IJSA_SD_SF_SF_NSB_INS4_IJiNS7_IiLi128EEEEEELb0EEENSE_IS8_EEEEENS4_IJSI_SJ_SK_SX_SO_SY_EEENS4_IJSM_SN_SO_NSH_IJLi6EEEENSH_IJLi7ELi8EEEENSH_IJLi9EEEEEEENSH_IJLi6ELi7ELi8ELi9EEEElEENS3_INS4_IJSS_SD_SF_SF_S1A_S1B_EEENS4_IJSI_SK_SJ_SX_SO_SY_EEES1H_S1I_lEENS3_INS4_IJSS_SF_SF_NSB_INS4_IJiNS7_IiLi2EEENS7_IiLi64EEEEEELb0EEES1Q_EEENS4_IJSI_SK_SJ_SX_SY_EEENS4_IJSM_SX_SY_NSH_IJLi5ELi6ELi7EEEENSH_IJLi8ELi9ELi10EEEEEEENSH_IJLi5ELi6ELi7ELi8ELi9ELi10EEEElEENS_31BlockToCTileMap_M00_N00_M01_N01ILi128ELi128ES10_Lb0EEELb0ELb1EEEvPKT0_S22_PT1_T2_T3_T4_T5_.uses_vcc, 0
	.set _ZN2ck19kernel_gemm_dl_v1r3INS_28GridwiseGemmDl_km_kn_mn_v1r3ILi256EfffLNS_25InMemoryDataOperationEnumE0ENS_16TensorDescriptorINS_5TupleIJNS_5EmbedINS4_IJiiEEENS4_IJNS_17integral_constantIiLi1EEEiEEELb0EEENS_7UnMergeINS4_IJiS8_EEELb0EEENS_11PassThroughIiEEEEENS4_IJNS_8SequenceIJLi0EEEENSH_IJLi2EEEENSH_IJLi1EEEEEEENS4_IJNSH_IJLi1ELi2EEEENSH_IJLi3ELi4EEEENSH_IJLi5EEEEEEENSH_IJLi3ELi5ELi4EEEElEENS3_INS4_IJNS5_IS6_SC_Lb0EEESD_SF_EEENS4_IJSI_SK_SJ_EEESP_SQ_lEENS3_INS4_IJSS_SF_SF_EEESU_NS4_IJSM_NSH_IJLi3EEEENSH_IJLi4EEEEEEESN_lEELi128ELi128ELi16ELi1ELi4ELi4ELi1ENSH_IJLi8ELi2EEEES11_NSH_IJLi2ELi1ELi4ELi1EEEENSH_IJLi8ELi1ELi32ELi1EEEENSH_IJLi0ELi3ELi1ELi2EEEES14_NSH_IJLi1ELi1ELi4ELi1EEEES14_S15_S12_S13_S14_S14_S15_S14_S15_NSH_IJLi0ELi1ELi2ELi3ELi4ELi5EEEELi5ELi4EEEffNS3_INS4_IJSA_SD_SF_SF_NSB_INS4_IJiNS7_IiLi128EEEEEELb0EEENSE_IS8_EEEEENS4_IJSI_SJ_SK_SX_SO_SY_EEENS4_IJSM_SN_SO_NSH_IJLi6EEEENSH_IJLi7ELi8EEEENSH_IJLi9EEEEEEENSH_IJLi6ELi7ELi8ELi9EEEElEENS3_INS4_IJSS_SD_SF_SF_S1A_S1B_EEENS4_IJSI_SK_SJ_SX_SO_SY_EEES1H_S1I_lEENS3_INS4_IJSS_SF_SF_NSB_INS4_IJiNS7_IiLi2EEENS7_IiLi64EEEEEELb0EEES1Q_EEENS4_IJSI_SK_SJ_SX_SY_EEENS4_IJSM_SX_SY_NSH_IJLi5ELi6ELi7EEEENSH_IJLi8ELi9ELi10EEEEEEENSH_IJLi5ELi6ELi7ELi8ELi9ELi10EEEElEENS_31BlockToCTileMap_M00_N00_M01_N01ILi128ELi128ES10_Lb0EEELb0ELb1EEEvPKT0_S22_PT1_T2_T3_T4_T5_.uses_flat_scratch, 0
	.set _ZN2ck19kernel_gemm_dl_v1r3INS_28GridwiseGemmDl_km_kn_mn_v1r3ILi256EfffLNS_25InMemoryDataOperationEnumE0ENS_16TensorDescriptorINS_5TupleIJNS_5EmbedINS4_IJiiEEENS4_IJNS_17integral_constantIiLi1EEEiEEELb0EEENS_7UnMergeINS4_IJiS8_EEELb0EEENS_11PassThroughIiEEEEENS4_IJNS_8SequenceIJLi0EEEENSH_IJLi2EEEENSH_IJLi1EEEEEEENS4_IJNSH_IJLi1ELi2EEEENSH_IJLi3ELi4EEEENSH_IJLi5EEEEEEENSH_IJLi3ELi5ELi4EEEElEENS3_INS4_IJNS5_IS6_SC_Lb0EEESD_SF_EEENS4_IJSI_SK_SJ_EEESP_SQ_lEENS3_INS4_IJSS_SF_SF_EEESU_NS4_IJSM_NSH_IJLi3EEEENSH_IJLi4EEEEEEESN_lEELi128ELi128ELi16ELi1ELi4ELi4ELi1ENSH_IJLi8ELi2EEEES11_NSH_IJLi2ELi1ELi4ELi1EEEENSH_IJLi8ELi1ELi32ELi1EEEENSH_IJLi0ELi3ELi1ELi2EEEES14_NSH_IJLi1ELi1ELi4ELi1EEEES14_S15_S12_S13_S14_S14_S15_S14_S15_NSH_IJLi0ELi1ELi2ELi3ELi4ELi5EEEELi5ELi4EEEffNS3_INS4_IJSA_SD_SF_SF_NSB_INS4_IJiNS7_IiLi128EEEEEELb0EEENSE_IS8_EEEEENS4_IJSI_SJ_SK_SX_SO_SY_EEENS4_IJSM_SN_SO_NSH_IJLi6EEEENSH_IJLi7ELi8EEEENSH_IJLi9EEEEEEENSH_IJLi6ELi7ELi8ELi9EEEElEENS3_INS4_IJSS_SD_SF_SF_S1A_S1B_EEENS4_IJSI_SK_SJ_SX_SO_SY_EEES1H_S1I_lEENS3_INS4_IJSS_SF_SF_NSB_INS4_IJiNS7_IiLi2EEENS7_IiLi64EEEEEELb0EEES1Q_EEENS4_IJSI_SK_SJ_SX_SY_EEENS4_IJSM_SX_SY_NSH_IJLi5ELi6ELi7EEEENSH_IJLi8ELi9ELi10EEEEEEENSH_IJLi5ELi6ELi7ELi8ELi9ELi10EEEElEENS_31BlockToCTileMap_M00_N00_M01_N01ILi128ELi128ES10_Lb0EEELb0ELb1EEEvPKT0_S22_PT1_T2_T3_T4_T5_.has_dyn_sized_stack, 0
	.set _ZN2ck19kernel_gemm_dl_v1r3INS_28GridwiseGemmDl_km_kn_mn_v1r3ILi256EfffLNS_25InMemoryDataOperationEnumE0ENS_16TensorDescriptorINS_5TupleIJNS_5EmbedINS4_IJiiEEENS4_IJNS_17integral_constantIiLi1EEEiEEELb0EEENS_7UnMergeINS4_IJiS8_EEELb0EEENS_11PassThroughIiEEEEENS4_IJNS_8SequenceIJLi0EEEENSH_IJLi2EEEENSH_IJLi1EEEEEEENS4_IJNSH_IJLi1ELi2EEEENSH_IJLi3ELi4EEEENSH_IJLi5EEEEEEENSH_IJLi3ELi5ELi4EEEElEENS3_INS4_IJNS5_IS6_SC_Lb0EEESD_SF_EEENS4_IJSI_SK_SJ_EEESP_SQ_lEENS3_INS4_IJSS_SF_SF_EEESU_NS4_IJSM_NSH_IJLi3EEEENSH_IJLi4EEEEEEESN_lEELi128ELi128ELi16ELi1ELi4ELi4ELi1ENSH_IJLi8ELi2EEEES11_NSH_IJLi2ELi1ELi4ELi1EEEENSH_IJLi8ELi1ELi32ELi1EEEENSH_IJLi0ELi3ELi1ELi2EEEES14_NSH_IJLi1ELi1ELi4ELi1EEEES14_S15_S12_S13_S14_S14_S15_S14_S15_NSH_IJLi0ELi1ELi2ELi3ELi4ELi5EEEELi5ELi4EEEffNS3_INS4_IJSA_SD_SF_SF_NSB_INS4_IJiNS7_IiLi128EEEEEELb0EEENSE_IS8_EEEEENS4_IJSI_SJ_SK_SX_SO_SY_EEENS4_IJSM_SN_SO_NSH_IJLi6EEEENSH_IJLi7ELi8EEEENSH_IJLi9EEEEEEENSH_IJLi6ELi7ELi8ELi9EEEElEENS3_INS4_IJSS_SD_SF_SF_S1A_S1B_EEENS4_IJSI_SK_SJ_SX_SO_SY_EEES1H_S1I_lEENS3_INS4_IJSS_SF_SF_NSB_INS4_IJiNS7_IiLi2EEENS7_IiLi64EEEEEELb0EEES1Q_EEENS4_IJSI_SK_SJ_SX_SY_EEENS4_IJSM_SX_SY_NSH_IJLi5ELi6ELi7EEEENSH_IJLi8ELi9ELi10EEEEEEENSH_IJLi5ELi6ELi7ELi8ELi9ELi10EEEElEENS_31BlockToCTileMap_M00_N00_M01_N01ILi128ELi128ES10_Lb0EEELb0ELb1EEEvPKT0_S22_PT1_T2_T3_T4_T5_.has_recursion, 0
	.set _ZN2ck19kernel_gemm_dl_v1r3INS_28GridwiseGemmDl_km_kn_mn_v1r3ILi256EfffLNS_25InMemoryDataOperationEnumE0ENS_16TensorDescriptorINS_5TupleIJNS_5EmbedINS4_IJiiEEENS4_IJNS_17integral_constantIiLi1EEEiEEELb0EEENS_7UnMergeINS4_IJiS8_EEELb0EEENS_11PassThroughIiEEEEENS4_IJNS_8SequenceIJLi0EEEENSH_IJLi2EEEENSH_IJLi1EEEEEEENS4_IJNSH_IJLi1ELi2EEEENSH_IJLi3ELi4EEEENSH_IJLi5EEEEEEENSH_IJLi3ELi5ELi4EEEElEENS3_INS4_IJNS5_IS6_SC_Lb0EEESD_SF_EEENS4_IJSI_SK_SJ_EEESP_SQ_lEENS3_INS4_IJSS_SF_SF_EEESU_NS4_IJSM_NSH_IJLi3EEEENSH_IJLi4EEEEEEESN_lEELi128ELi128ELi16ELi1ELi4ELi4ELi1ENSH_IJLi8ELi2EEEES11_NSH_IJLi2ELi1ELi4ELi1EEEENSH_IJLi8ELi1ELi32ELi1EEEENSH_IJLi0ELi3ELi1ELi2EEEES14_NSH_IJLi1ELi1ELi4ELi1EEEES14_S15_S12_S13_S14_S14_S15_S14_S15_NSH_IJLi0ELi1ELi2ELi3ELi4ELi5EEEELi5ELi4EEEffNS3_INS4_IJSA_SD_SF_SF_NSB_INS4_IJiNS7_IiLi128EEEEEELb0EEENSE_IS8_EEEEENS4_IJSI_SJ_SK_SX_SO_SY_EEENS4_IJSM_SN_SO_NSH_IJLi6EEEENSH_IJLi7ELi8EEEENSH_IJLi9EEEEEEENSH_IJLi6ELi7ELi8ELi9EEEElEENS3_INS4_IJSS_SD_SF_SF_S1A_S1B_EEENS4_IJSI_SK_SJ_SX_SO_SY_EEES1H_S1I_lEENS3_INS4_IJSS_SF_SF_NSB_INS4_IJiNS7_IiLi2EEENS7_IiLi64EEEEEELb0EEES1Q_EEENS4_IJSI_SK_SJ_SX_SY_EEENS4_IJSM_SX_SY_NSH_IJLi5ELi6ELi7EEEENSH_IJLi8ELi9ELi10EEEEEEENSH_IJLi5ELi6ELi7ELi8ELi9ELi10EEEElEENS_31BlockToCTileMap_M00_N00_M01_N01ILi128ELi128ES10_Lb0EEELb0ELb1EEEvPKT0_S22_PT1_T2_T3_T4_T5_.has_indirect_call, 0
	.section	.AMDGPU.csdata,"",@progbits
; Kernel info:
; codeLenInByte = 18964
; TotalNumSgprs: 33
; NumVgprs: 101
; ScratchSize: 0
; MemoryBound: 0
; FloatMode: 240
; IeeeMode: 1
; LDSByteSize: 32768 bytes/workgroup (compile time only)
; SGPRBlocks: 12
; VGPRBlocks: 25
; NumSGPRsForWavesPerEU: 102
; NumVGPRsForWavesPerEU: 101
; Occupancy: 2
; WaveLimiterHint : 0
; COMPUTE_PGM_RSRC2:SCRATCH_EN: 0
; COMPUTE_PGM_RSRC2:USER_SGPR: 6
; COMPUTE_PGM_RSRC2:TRAP_HANDLER: 0
; COMPUTE_PGM_RSRC2:TGID_X_EN: 1
; COMPUTE_PGM_RSRC2:TGID_Y_EN: 0
; COMPUTE_PGM_RSRC2:TGID_Z_EN: 0
; COMPUTE_PGM_RSRC2:TIDIG_COMP_CNT: 0
	.section	.text._ZN2ck19kernel_gemm_dl_v1r3INS_28GridwiseGemmDl_km_kn_mn_v1r3ILi256EfffLNS_25InMemoryDataOperationEnumE0ENS_16TensorDescriptorINS_5TupleIJNS_5EmbedINS4_IJiiEEENS4_IJNS_17integral_constantIiLi1EEEiEEELb0EEENS_7UnMergeINS4_IJiS8_EEELb0EEENS_11PassThroughIiEEEEENS4_IJNS_8SequenceIJLi0EEEENSH_IJLi2EEEENSH_IJLi1EEEEEEENS4_IJNSH_IJLi1ELi2EEEENSH_IJLi3ELi4EEEENSH_IJLi5EEEEEEENSH_IJLi3ELi5ELi4EEEElEENS3_INS4_IJNS5_IS6_SC_Lb0EEESD_SF_EEENS4_IJSI_SK_SJ_EEESP_SQ_lEENS3_INS4_IJSS_SF_SF_EEESU_NS4_IJSM_NSH_IJLi3EEEENSH_IJLi4EEEEEEESN_lEELi128ELi128ELi16ELi1ELi4ELi4ELi1ENSH_IJLi8ELi2EEEES11_NSH_IJLi2ELi1ELi4ELi1EEEENSH_IJLi8ELi1ELi32ELi1EEEENSH_IJLi0ELi3ELi1ELi2EEEES14_NSH_IJLi1ELi1ELi4ELi1EEEES14_S15_S12_S13_S14_S14_S15_S14_S15_NSH_IJLi0ELi1ELi2ELi3ELi4ELi5EEEELi5ELi4EEEffNS3_INS4_IJSA_SD_SF_SF_NSB_INS4_IJiNS7_IiLi128EEEEEELb0EEENSE_IS8_EEEEENS4_IJSI_SJ_SK_SX_SO_SY_EEENS4_IJSM_SN_SO_NSH_IJLi6EEEENSH_IJLi7ELi8EEEENSH_IJLi9EEEEEEENSH_IJLi6ELi7ELi8ELi9EEEElEENS3_INS4_IJSS_SD_SF_SF_S1A_S1B_EEENS4_IJSI_SK_SJ_SX_SO_SY_EEES1H_S1I_lEENS3_INS4_IJSS_SF_SF_NSB_INS4_IJiNS7_IiLi2EEENS7_IiLi64EEEEEELb0EEES1Q_EEENS4_IJSI_SK_SJ_SX_SY_EEENS4_IJSM_SX_SY_NSH_IJLi5ELi6ELi7EEEENSH_IJLi8ELi9ELi10EEEEEEENSH_IJLi5ELi6ELi7ELi8ELi9ELi10EEEElEENS_31BlockToCTileMap_M00_N00_M01_N01ILi128ELi128ES10_Lb0EEELb0ELb0EEEvPKT0_S22_PT1_T2_T3_T4_T5_,"axG",@progbits,_ZN2ck19kernel_gemm_dl_v1r3INS_28GridwiseGemmDl_km_kn_mn_v1r3ILi256EfffLNS_25InMemoryDataOperationEnumE0ENS_16TensorDescriptorINS_5TupleIJNS_5EmbedINS4_IJiiEEENS4_IJNS_17integral_constantIiLi1EEEiEEELb0EEENS_7UnMergeINS4_IJiS8_EEELb0EEENS_11PassThroughIiEEEEENS4_IJNS_8SequenceIJLi0EEEENSH_IJLi2EEEENSH_IJLi1EEEEEEENS4_IJNSH_IJLi1ELi2EEEENSH_IJLi3ELi4EEEENSH_IJLi5EEEEEEENSH_IJLi3ELi5ELi4EEEElEENS3_INS4_IJNS5_IS6_SC_Lb0EEESD_SF_EEENS4_IJSI_SK_SJ_EEESP_SQ_lEENS3_INS4_IJSS_SF_SF_EEESU_NS4_IJSM_NSH_IJLi3EEEENSH_IJLi4EEEEEEESN_lEELi128ELi128ELi16ELi1ELi4ELi4ELi1ENSH_IJLi8ELi2EEEES11_NSH_IJLi2ELi1ELi4ELi1EEEENSH_IJLi8ELi1ELi32ELi1EEEENSH_IJLi0ELi3ELi1ELi2EEEES14_NSH_IJLi1ELi1ELi4ELi1EEEES14_S15_S12_S13_S14_S14_S15_S14_S15_NSH_IJLi0ELi1ELi2ELi3ELi4ELi5EEEELi5ELi4EEEffNS3_INS4_IJSA_SD_SF_SF_NSB_INS4_IJiNS7_IiLi128EEEEEELb0EEENSE_IS8_EEEEENS4_IJSI_SJ_SK_SX_SO_SY_EEENS4_IJSM_SN_SO_NSH_IJLi6EEEENSH_IJLi7ELi8EEEENSH_IJLi9EEEEEEENSH_IJLi6ELi7ELi8ELi9EEEElEENS3_INS4_IJSS_SD_SF_SF_S1A_S1B_EEENS4_IJSI_SK_SJ_SX_SO_SY_EEES1H_S1I_lEENS3_INS4_IJSS_SF_SF_NSB_INS4_IJiNS7_IiLi2EEENS7_IiLi64EEEEEELb0EEES1Q_EEENS4_IJSI_SK_SJ_SX_SY_EEENS4_IJSM_SX_SY_NSH_IJLi5ELi6ELi7EEEENSH_IJLi8ELi9ELi10EEEEEEENSH_IJLi5ELi6ELi7ELi8ELi9ELi10EEEElEENS_31BlockToCTileMap_M00_N00_M01_N01ILi128ELi128ES10_Lb0EEELb0ELb0EEEvPKT0_S22_PT1_T2_T3_T4_T5_,comdat
	.protected	_ZN2ck19kernel_gemm_dl_v1r3INS_28GridwiseGemmDl_km_kn_mn_v1r3ILi256EfffLNS_25InMemoryDataOperationEnumE0ENS_16TensorDescriptorINS_5TupleIJNS_5EmbedINS4_IJiiEEENS4_IJNS_17integral_constantIiLi1EEEiEEELb0EEENS_7UnMergeINS4_IJiS8_EEELb0EEENS_11PassThroughIiEEEEENS4_IJNS_8SequenceIJLi0EEEENSH_IJLi2EEEENSH_IJLi1EEEEEEENS4_IJNSH_IJLi1ELi2EEEENSH_IJLi3ELi4EEEENSH_IJLi5EEEEEEENSH_IJLi3ELi5ELi4EEEElEENS3_INS4_IJNS5_IS6_SC_Lb0EEESD_SF_EEENS4_IJSI_SK_SJ_EEESP_SQ_lEENS3_INS4_IJSS_SF_SF_EEESU_NS4_IJSM_NSH_IJLi3EEEENSH_IJLi4EEEEEEESN_lEELi128ELi128ELi16ELi1ELi4ELi4ELi1ENSH_IJLi8ELi2EEEES11_NSH_IJLi2ELi1ELi4ELi1EEEENSH_IJLi8ELi1ELi32ELi1EEEENSH_IJLi0ELi3ELi1ELi2EEEES14_NSH_IJLi1ELi1ELi4ELi1EEEES14_S15_S12_S13_S14_S14_S15_S14_S15_NSH_IJLi0ELi1ELi2ELi3ELi4ELi5EEEELi5ELi4EEEffNS3_INS4_IJSA_SD_SF_SF_NSB_INS4_IJiNS7_IiLi128EEEEEELb0EEENSE_IS8_EEEEENS4_IJSI_SJ_SK_SX_SO_SY_EEENS4_IJSM_SN_SO_NSH_IJLi6EEEENSH_IJLi7ELi8EEEENSH_IJLi9EEEEEEENSH_IJLi6ELi7ELi8ELi9EEEElEENS3_INS4_IJSS_SD_SF_SF_S1A_S1B_EEENS4_IJSI_SK_SJ_SX_SO_SY_EEES1H_S1I_lEENS3_INS4_IJSS_SF_SF_NSB_INS4_IJiNS7_IiLi2EEENS7_IiLi64EEEEEELb0EEES1Q_EEENS4_IJSI_SK_SJ_SX_SY_EEENS4_IJSM_SX_SY_NSH_IJLi5ELi6ELi7EEEENSH_IJLi8ELi9ELi10EEEEEEENSH_IJLi5ELi6ELi7ELi8ELi9ELi10EEEElEENS_31BlockToCTileMap_M00_N00_M01_N01ILi128ELi128ES10_Lb0EEELb0ELb0EEEvPKT0_S22_PT1_T2_T3_T4_T5_ ; -- Begin function _ZN2ck19kernel_gemm_dl_v1r3INS_28GridwiseGemmDl_km_kn_mn_v1r3ILi256EfffLNS_25InMemoryDataOperationEnumE0ENS_16TensorDescriptorINS_5TupleIJNS_5EmbedINS4_IJiiEEENS4_IJNS_17integral_constantIiLi1EEEiEEELb0EEENS_7UnMergeINS4_IJiS8_EEELb0EEENS_11PassThroughIiEEEEENS4_IJNS_8SequenceIJLi0EEEENSH_IJLi2EEEENSH_IJLi1EEEEEEENS4_IJNSH_IJLi1ELi2EEEENSH_IJLi3ELi4EEEENSH_IJLi5EEEEEEENSH_IJLi3ELi5ELi4EEEElEENS3_INS4_IJNS5_IS6_SC_Lb0EEESD_SF_EEENS4_IJSI_SK_SJ_EEESP_SQ_lEENS3_INS4_IJSS_SF_SF_EEESU_NS4_IJSM_NSH_IJLi3EEEENSH_IJLi4EEEEEEESN_lEELi128ELi128ELi16ELi1ELi4ELi4ELi1ENSH_IJLi8ELi2EEEES11_NSH_IJLi2ELi1ELi4ELi1EEEENSH_IJLi8ELi1ELi32ELi1EEEENSH_IJLi0ELi3ELi1ELi2EEEES14_NSH_IJLi1ELi1ELi4ELi1EEEES14_S15_S12_S13_S14_S14_S15_S14_S15_NSH_IJLi0ELi1ELi2ELi3ELi4ELi5EEEELi5ELi4EEEffNS3_INS4_IJSA_SD_SF_SF_NSB_INS4_IJiNS7_IiLi128EEEEEELb0EEENSE_IS8_EEEEENS4_IJSI_SJ_SK_SX_SO_SY_EEENS4_IJSM_SN_SO_NSH_IJLi6EEEENSH_IJLi7ELi8EEEENSH_IJLi9EEEEEEENSH_IJLi6ELi7ELi8ELi9EEEElEENS3_INS4_IJSS_SD_SF_SF_S1A_S1B_EEENS4_IJSI_SK_SJ_SX_SO_SY_EEES1H_S1I_lEENS3_INS4_IJSS_SF_SF_NSB_INS4_IJiNS7_IiLi2EEENS7_IiLi64EEEEEELb0EEES1Q_EEENS4_IJSI_SK_SJ_SX_SY_EEENS4_IJSM_SX_SY_NSH_IJLi5ELi6ELi7EEEENSH_IJLi8ELi9ELi10EEEEEEENSH_IJLi5ELi6ELi7ELi8ELi9ELi10EEEElEENS_31BlockToCTileMap_M00_N00_M01_N01ILi128ELi128ES10_Lb0EEELb0ELb0EEEvPKT0_S22_PT1_T2_T3_T4_T5_
	.globl	_ZN2ck19kernel_gemm_dl_v1r3INS_28GridwiseGemmDl_km_kn_mn_v1r3ILi256EfffLNS_25InMemoryDataOperationEnumE0ENS_16TensorDescriptorINS_5TupleIJNS_5EmbedINS4_IJiiEEENS4_IJNS_17integral_constantIiLi1EEEiEEELb0EEENS_7UnMergeINS4_IJiS8_EEELb0EEENS_11PassThroughIiEEEEENS4_IJNS_8SequenceIJLi0EEEENSH_IJLi2EEEENSH_IJLi1EEEEEEENS4_IJNSH_IJLi1ELi2EEEENSH_IJLi3ELi4EEEENSH_IJLi5EEEEEEENSH_IJLi3ELi5ELi4EEEElEENS3_INS4_IJNS5_IS6_SC_Lb0EEESD_SF_EEENS4_IJSI_SK_SJ_EEESP_SQ_lEENS3_INS4_IJSS_SF_SF_EEESU_NS4_IJSM_NSH_IJLi3EEEENSH_IJLi4EEEEEEESN_lEELi128ELi128ELi16ELi1ELi4ELi4ELi1ENSH_IJLi8ELi2EEEES11_NSH_IJLi2ELi1ELi4ELi1EEEENSH_IJLi8ELi1ELi32ELi1EEEENSH_IJLi0ELi3ELi1ELi2EEEES14_NSH_IJLi1ELi1ELi4ELi1EEEES14_S15_S12_S13_S14_S14_S15_S14_S15_NSH_IJLi0ELi1ELi2ELi3ELi4ELi5EEEELi5ELi4EEEffNS3_INS4_IJSA_SD_SF_SF_NSB_INS4_IJiNS7_IiLi128EEEEEELb0EEENSE_IS8_EEEEENS4_IJSI_SJ_SK_SX_SO_SY_EEENS4_IJSM_SN_SO_NSH_IJLi6EEEENSH_IJLi7ELi8EEEENSH_IJLi9EEEEEEENSH_IJLi6ELi7ELi8ELi9EEEElEENS3_INS4_IJSS_SD_SF_SF_S1A_S1B_EEENS4_IJSI_SK_SJ_SX_SO_SY_EEES1H_S1I_lEENS3_INS4_IJSS_SF_SF_NSB_INS4_IJiNS7_IiLi2EEENS7_IiLi64EEEEEELb0EEES1Q_EEENS4_IJSI_SK_SJ_SX_SY_EEENS4_IJSM_SX_SY_NSH_IJLi5ELi6ELi7EEEENSH_IJLi8ELi9ELi10EEEEEEENSH_IJLi5ELi6ELi7ELi8ELi9ELi10EEEElEENS_31BlockToCTileMap_M00_N00_M01_N01ILi128ELi128ES10_Lb0EEELb0ELb0EEEvPKT0_S22_PT1_T2_T3_T4_T5_
	.p2align	8
	.type	_ZN2ck19kernel_gemm_dl_v1r3INS_28GridwiseGemmDl_km_kn_mn_v1r3ILi256EfffLNS_25InMemoryDataOperationEnumE0ENS_16TensorDescriptorINS_5TupleIJNS_5EmbedINS4_IJiiEEENS4_IJNS_17integral_constantIiLi1EEEiEEELb0EEENS_7UnMergeINS4_IJiS8_EEELb0EEENS_11PassThroughIiEEEEENS4_IJNS_8SequenceIJLi0EEEENSH_IJLi2EEEENSH_IJLi1EEEEEEENS4_IJNSH_IJLi1ELi2EEEENSH_IJLi3ELi4EEEENSH_IJLi5EEEEEEENSH_IJLi3ELi5ELi4EEEElEENS3_INS4_IJNS5_IS6_SC_Lb0EEESD_SF_EEENS4_IJSI_SK_SJ_EEESP_SQ_lEENS3_INS4_IJSS_SF_SF_EEESU_NS4_IJSM_NSH_IJLi3EEEENSH_IJLi4EEEEEEESN_lEELi128ELi128ELi16ELi1ELi4ELi4ELi1ENSH_IJLi8ELi2EEEES11_NSH_IJLi2ELi1ELi4ELi1EEEENSH_IJLi8ELi1ELi32ELi1EEEENSH_IJLi0ELi3ELi1ELi2EEEES14_NSH_IJLi1ELi1ELi4ELi1EEEES14_S15_S12_S13_S14_S14_S15_S14_S15_NSH_IJLi0ELi1ELi2ELi3ELi4ELi5EEEELi5ELi4EEEffNS3_INS4_IJSA_SD_SF_SF_NSB_INS4_IJiNS7_IiLi128EEEEEELb0EEENSE_IS8_EEEEENS4_IJSI_SJ_SK_SX_SO_SY_EEENS4_IJSM_SN_SO_NSH_IJLi6EEEENSH_IJLi7ELi8EEEENSH_IJLi9EEEEEEENSH_IJLi6ELi7ELi8ELi9EEEElEENS3_INS4_IJSS_SD_SF_SF_S1A_S1B_EEENS4_IJSI_SK_SJ_SX_SO_SY_EEES1H_S1I_lEENS3_INS4_IJSS_SF_SF_NSB_INS4_IJiNS7_IiLi2EEENS7_IiLi64EEEEEELb0EEES1Q_EEENS4_IJSI_SK_SJ_SX_SY_EEENS4_IJSM_SX_SY_NSH_IJLi5ELi6ELi7EEEENSH_IJLi8ELi9ELi10EEEEEEENSH_IJLi5ELi6ELi7ELi8ELi9ELi10EEEElEENS_31BlockToCTileMap_M00_N00_M01_N01ILi128ELi128ES10_Lb0EEELb0ELb0EEEvPKT0_S22_PT1_T2_T3_T4_T5_,@function
_ZN2ck19kernel_gemm_dl_v1r3INS_28GridwiseGemmDl_km_kn_mn_v1r3ILi256EfffLNS_25InMemoryDataOperationEnumE0ENS_16TensorDescriptorINS_5TupleIJNS_5EmbedINS4_IJiiEEENS4_IJNS_17integral_constantIiLi1EEEiEEELb0EEENS_7UnMergeINS4_IJiS8_EEELb0EEENS_11PassThroughIiEEEEENS4_IJNS_8SequenceIJLi0EEEENSH_IJLi2EEEENSH_IJLi1EEEEEEENS4_IJNSH_IJLi1ELi2EEEENSH_IJLi3ELi4EEEENSH_IJLi5EEEEEEENSH_IJLi3ELi5ELi4EEEElEENS3_INS4_IJNS5_IS6_SC_Lb0EEESD_SF_EEENS4_IJSI_SK_SJ_EEESP_SQ_lEENS3_INS4_IJSS_SF_SF_EEESU_NS4_IJSM_NSH_IJLi3EEEENSH_IJLi4EEEEEEESN_lEELi128ELi128ELi16ELi1ELi4ELi4ELi1ENSH_IJLi8ELi2EEEES11_NSH_IJLi2ELi1ELi4ELi1EEEENSH_IJLi8ELi1ELi32ELi1EEEENSH_IJLi0ELi3ELi1ELi2EEEES14_NSH_IJLi1ELi1ELi4ELi1EEEES14_S15_S12_S13_S14_S14_S15_S14_S15_NSH_IJLi0ELi1ELi2ELi3ELi4ELi5EEEELi5ELi4EEEffNS3_INS4_IJSA_SD_SF_SF_NSB_INS4_IJiNS7_IiLi128EEEEEELb0EEENSE_IS8_EEEEENS4_IJSI_SJ_SK_SX_SO_SY_EEENS4_IJSM_SN_SO_NSH_IJLi6EEEENSH_IJLi7ELi8EEEENSH_IJLi9EEEEEEENSH_IJLi6ELi7ELi8ELi9EEEElEENS3_INS4_IJSS_SD_SF_SF_S1A_S1B_EEENS4_IJSI_SK_SJ_SX_SO_SY_EEES1H_S1I_lEENS3_INS4_IJSS_SF_SF_NSB_INS4_IJiNS7_IiLi2EEENS7_IiLi64EEEEEELb0EEES1Q_EEENS4_IJSI_SK_SJ_SX_SY_EEENS4_IJSM_SX_SY_NSH_IJLi5ELi6ELi7EEEENSH_IJLi8ELi9ELi10EEEEEEENSH_IJLi5ELi6ELi7ELi8ELi9ELi10EEEElEENS_31BlockToCTileMap_M00_N00_M01_N01ILi128ELi128ES10_Lb0EEELb0ELb0EEEvPKT0_S22_PT1_T2_T3_T4_T5_: ; @_ZN2ck19kernel_gemm_dl_v1r3INS_28GridwiseGemmDl_km_kn_mn_v1r3ILi256EfffLNS_25InMemoryDataOperationEnumE0ENS_16TensorDescriptorINS_5TupleIJNS_5EmbedINS4_IJiiEEENS4_IJNS_17integral_constantIiLi1EEEiEEELb0EEENS_7UnMergeINS4_IJiS8_EEELb0EEENS_11PassThroughIiEEEEENS4_IJNS_8SequenceIJLi0EEEENSH_IJLi2EEEENSH_IJLi1EEEEEEENS4_IJNSH_IJLi1ELi2EEEENSH_IJLi3ELi4EEEENSH_IJLi5EEEEEEENSH_IJLi3ELi5ELi4EEEElEENS3_INS4_IJNS5_IS6_SC_Lb0EEESD_SF_EEENS4_IJSI_SK_SJ_EEESP_SQ_lEENS3_INS4_IJSS_SF_SF_EEESU_NS4_IJSM_NSH_IJLi3EEEENSH_IJLi4EEEEEEESN_lEELi128ELi128ELi16ELi1ELi4ELi4ELi1ENSH_IJLi8ELi2EEEES11_NSH_IJLi2ELi1ELi4ELi1EEEENSH_IJLi8ELi1ELi32ELi1EEEENSH_IJLi0ELi3ELi1ELi2EEEES14_NSH_IJLi1ELi1ELi4ELi1EEEES14_S15_S12_S13_S14_S14_S15_S14_S15_NSH_IJLi0ELi1ELi2ELi3ELi4ELi5EEEELi5ELi4EEEffNS3_INS4_IJSA_SD_SF_SF_NSB_INS4_IJiNS7_IiLi128EEEEEELb0EEENSE_IS8_EEEEENS4_IJSI_SJ_SK_SX_SO_SY_EEENS4_IJSM_SN_SO_NSH_IJLi6EEEENSH_IJLi7ELi8EEEENSH_IJLi9EEEEEEENSH_IJLi6ELi7ELi8ELi9EEEElEENS3_INS4_IJSS_SD_SF_SF_S1A_S1B_EEENS4_IJSI_SK_SJ_SX_SO_SY_EEES1H_S1I_lEENS3_INS4_IJSS_SF_SF_NSB_INS4_IJiNS7_IiLi2EEENS7_IiLi64EEEEEELb0EEES1Q_EEENS4_IJSI_SK_SJ_SX_SY_EEENS4_IJSM_SX_SY_NSH_IJLi5ELi6ELi7EEEENSH_IJLi8ELi9ELi10EEEEEEENSH_IJLi5ELi6ELi7ELi8ELi9ELi10EEEElEENS_31BlockToCTileMap_M00_N00_M01_N01ILi128ELi128ES10_Lb0EEELb0ELb0EEEvPKT0_S22_PT1_T2_T3_T4_T5_
; %bb.0:
	s_load_dwordx4 s[8:11], s[4:5], 0x0
	s_load_dwordx2 s[0:1], s[4:5], 0x10
	s_load_dwordx4 s[16:19], s[4:5], 0x108
	s_load_dwordx4 s[20:23], s[4:5], 0x11c
	;; [unrolled: 1-line block ×3, first 2 shown]
	s_load_dword s14, s[4:5], 0x24
	s_load_dword s7, s[4:5], 0x50
	;; [unrolled: 1-line block ×8, first 2 shown]
	s_waitcnt lgkmcnt(0)
	s_mul_hi_u32 s4, s23, s6
	s_add_i32 s4, s6, s4
	s_lshr_b32 s4, s4, s27
	s_mul_i32 s5, s4, s19
	s_sub_i32 s5, s6, s5
	s_mul_hi_u32 s6, s4, s22
	s_add_i32 s6, s4, s6
	s_lshr_b32 s6, s6, s26
	s_mul_i32 s18, s6, s18
	s_sub_i32 s4, s4, s18
	;; [unrolled: 5-line block ×3, first 2 shown]
	s_mul_hi_u32 s17, s18, s20
	s_add_i32 s17, s18, s17
	s_lshr_b32 s17, s17, s24
	v_lshrrev_b32_e32 v1, 4, v0
	s_mul_i32 s17, s17, s16
	v_and_b32_e32 v1, 14, v1
	s_sub_i32 s16, s18, s17
	v_mul_lo_u32 v3, s14, v1
	s_mul_i32 s16, s16, s3
	v_mul_lo_u32 v4, s15, v1
	s_mul_i32 s6, s6, s13
	s_add_i32 s4, s4, s16
	v_lshlrev_b32_e32 v2, 2, v0
	s_add_i32 s5, s5, s6
	v_and_b32_e32 v30, 0x7c, v2
	s_lshl_b32 s13, s4, 7
	v_add3_u32 v3, v3, v30, s13
	s_lshl_b32 s3, s5, 7
	v_add3_u32 v4, v4, v30, s3
	s_lshl_b32 s6, s7, 2
	s_and_b32 s5, s9, 0xffff
	s_mov_b32 s7, 0x20000
	s_mov_b32 s4, s8
	v_lshlrev_b32_e32 v5, 2, v3
	v_add_lshl_u32 v3, v3, s14, 2
	buffer_load_dwordx4 v[14:17], v5, s[4:7], 0 offen
	buffer_load_dwordx4 v[18:21], v3, s[4:7], 0 offen
	s_lshl_b32 s6, s28, 2
	s_and_b32 s5, s11, 0xffff
	s_mov_b32 s4, s10
	v_lshlrev_b32_e32 v3, 2, v4
	v_add_lshl_u32 v4, v4, s15, 2
	buffer_load_dwordx4 v[22:25], v3, s[4:7], 0 offen
	buffer_load_dwordx4 v[26:29], v4, s[4:7], 0 offen
	v_lshrrev_b32_e32 v31, 5, v0
	v_lshlrev_b32_e32 v0, 1, v0
	v_lshlrev_b32_e32 v32, 6, v31
	v_and_b32_e32 v33, 0x1f8, v0
	v_lshlrev_b32_e32 v31, 3, v31
	v_sub_u32_e32 v32, v33, v32
	v_and_or_b32 v85, v0, 4, v31
	v_lshlrev_b32_e32 v0, 2, v30
	v_and_or_b32 v84, v2, 4, v32
	v_lshl_or_b32 v0, v1, 9, v0
	v_lshlrev_b32_e32 v86, 2, v85
	v_lshlrev_b32_e32 v87, 2, v84
	v_mov_b32_e32 v4, 0
	v_mov_b32_e32 v5, 0
	;; [unrolled: 1-line block ×39, first 2 shown]
	s_lshl_b32 s2, s2, 2
	s_and_b32 s1, s1, 0xffff
	s_waitcnt vmcnt(3)
	ds_write_b128 v0, v[14:17]
	s_waitcnt vmcnt(2)
	ds_write_b128 v0, v[18:21] offset:512
	s_waitcnt vmcnt(1)
	ds_write_b128 v0, v[22:25] offset:16384
	s_waitcnt vmcnt(0)
	ds_write_b128 v0, v[26:29] offset:16896
	s_waitcnt lgkmcnt(0)
	s_barrier
	ds_read_b128 v[30:33], v86
	ds_read_b128 v[49:52], v87 offset:16384
	ds_read_b128 v[64:67], v87 offset:16640
	;; [unrolled: 1-line block ×3, first 2 shown]
	v_mov_b32_e32 v14, 0
	v_mov_b32_e32 v15, 0
	;; [unrolled: 1-line block ×14, first 2 shown]
	s_waitcnt lgkmcnt(2)
	;;#ASMSTART
	
             v_fmac_f32 v4, v30, v49 
             
	;;#ASMEND
	;;#ASMSTART
	
             v_fmac_f32 v5, v30, v50 
             
	;;#ASMEND
	;; [unrolled: 5-line block ×16, first 2 shown]
	s_waitcnt lgkmcnt(1)
	;;#ASMSTART
	
             v_fmac_f32 v20, v30, v64 
             
	;;#ASMEND
	;;#ASMSTART
	
             v_fmac_f32 v21, v30, v65 
             
	;;#ASMEND
	;; [unrolled: 5-line block ×8, first 2 shown]
	v_mov_b32_e32 v28, 0
	v_mov_b32_e32 v29, 0
	;; [unrolled: 1-line block ×4, first 2 shown]
	;;#ASMSTART
	
             v_fmac_f32 v28, v32, v64 
             
	;;#ASMEND
	;;#ASMSTART
	
             v_fmac_f32 v29, v32, v65 
             
	;;#ASMEND
	;; [unrolled: 5-line block ×8, first 2 shown]
	v_mov_b32_e32 v32, 0
	v_mov_b32_e32 v33, 0
	ds_read_b128 v[68:71], v86 offset:512
	s_waitcnt lgkmcnt(1)
	;;#ASMSTART
	
             v_fmac_f32 v32, v76, v49 
             
	;;#ASMEND
	;;#ASMSTART
	
             v_fmac_f32 v33, v76, v50 
             
	;;#ASMEND
	;; [unrolled: 5-line block ×13, first 2 shown]
	v_mov_b32_e32 v49, 0
	;;#ASMSTART
	
             v_fmac_f32 v49, v79, v50 
             
	;;#ASMEND
	v_mov_b32_e32 v50, 0
	;;#ASMSTART
	
             v_fmac_f32 v50, v79, v51 
             
	;;#ASMEND
	;; [unrolled: 6-line block ×3, first 2 shown]
	v_mov_b32_e32 v52, 0
	v_mov_b32_e32 v0, 0
	ds_read_b128 v[72:75], v87 offset:16896
	;;#ASMSTART
	
             v_fmac_f32 v52, v76, v64 
             
	;;#ASMEND
	;;#ASMSTART
	
             v_fmac_f32 v53, v76, v65 
             
	;;#ASMEND
	;; [unrolled: 5-line block ×16, first 2 shown]
	ds_read_b128 v[64:67], v87 offset:17152
	ds_read_b128 v[76:79], v86 offset:768
	s_waitcnt lgkmcnt(2)
	;;#ASMSTART
	
             v_fmac_f32 v4, v68, v72 
             
	;;#ASMEND
	;;#ASMSTART
	
             v_fmac_f32 v5, v68, v73 
             
	;;#ASMEND
	;; [unrolled: 5-line block ×16, first 2 shown]
	s_waitcnt lgkmcnt(1)
	;;#ASMSTART
	
             v_fmac_f32 v20, v68, v64 
             
	;;#ASMEND
	;;#ASMSTART
	
             v_fmac_f32 v21, v68, v65 
             
	;;#ASMEND
	;; [unrolled: 5-line block ×16, first 2 shown]
	ds_read_b128 v[68:71], v86 offset:1024
	s_waitcnt lgkmcnt(1)
	;;#ASMSTART
	
             v_fmac_f32 v32, v76, v72 
             
	;;#ASMEND
	;;#ASMSTART
	
             v_fmac_f32 v33, v76, v73 
             
	;;#ASMEND
	;; [unrolled: 5-line block ×16, first 2 shown]
	ds_read_b128 v[72:75], v87 offset:17408
	;;#ASMSTART
	
             v_fmac_f32 v52, v76, v64 
             
	;;#ASMEND
	;;#ASMSTART
	
             v_fmac_f32 v53, v76, v65 
             
	;;#ASMEND
	;; [unrolled: 5-line block ×16, first 2 shown]
	ds_read_b128 v[64:67], v87 offset:17664
	ds_read_b128 v[76:79], v86 offset:1280
	s_waitcnt lgkmcnt(2)
	;;#ASMSTART
	
             v_fmac_f32 v4, v68, v72 
             
	;;#ASMEND
	;;#ASMSTART
	
             v_fmac_f32 v5, v68, v73 
             
	;;#ASMEND
	;; [unrolled: 5-line block ×16, first 2 shown]
	s_waitcnt lgkmcnt(1)
	;;#ASMSTART
	
             v_fmac_f32 v20, v68, v64 
             
	;;#ASMEND
	;;#ASMSTART
	
             v_fmac_f32 v21, v68, v65 
             
	;;#ASMEND
	;; [unrolled: 5-line block ×16, first 2 shown]
	ds_read_b128 v[68:71], v86 offset:1536
	s_waitcnt lgkmcnt(1)
	;;#ASMSTART
	
             v_fmac_f32 v32, v76, v72 
             
	;;#ASMEND
	;;#ASMSTART
	
             v_fmac_f32 v33, v76, v73 
             
	;;#ASMEND
	;;#ASMSTART
	
             v_fmac_f32 v34, v76, v74 
             
	;;#ASMEND
	;;#ASMSTART
	
             v_fmac_f32 v35, v76, v75 
             
	;;#ASMEND
	;;#ASMSTART
	
             v_fmac_f32 v40, v77, v72 
             
	;;#ASMEND
	;;#ASMSTART
	
             v_fmac_f32 v41, v77, v73 
             
	;;#ASMEND
	;;#ASMSTART
	
             v_fmac_f32 v42, v77, v74 
             
	;;#ASMEND
	;;#ASMSTART
	
             v_fmac_f32 v43, v77, v75 
             
	;;#ASMEND
	;;#ASMSTART
	
             v_fmac_f32 v44, v78, v72 
             
	;;#ASMEND
	;;#ASMSTART
	
             v_fmac_f32 v45, v78, v73 
             
	;;#ASMEND
	;;#ASMSTART
	
             v_fmac_f32 v46, v78, v74 
             
	;;#ASMEND
	;;#ASMSTART
	
             v_fmac_f32 v47, v78, v75 
             
	;;#ASMEND
	;;#ASMSTART
	
             v_fmac_f32 v48, v79, v72 
             
	;;#ASMEND
	;;#ASMSTART
	
             v_fmac_f32 v49, v79, v73 
             
	;;#ASMEND
	;;#ASMSTART
	
             v_fmac_f32 v50, v79, v74 
             
	;;#ASMEND
	;;#ASMSTART
	
             v_fmac_f32 v51, v79, v75 
             
	;;#ASMEND
	ds_read_b128 v[72:75], v87 offset:17920
	;;#ASMSTART
	
             v_fmac_f32 v52, v76, v64 
             
	;;#ASMEND
	;;#ASMSTART
	
             v_fmac_f32 v53, v76, v65 
             
	;;#ASMEND
	;; [unrolled: 5-line block ×16, first 2 shown]
	ds_read_b128 v[64:67], v87 offset:18176
	ds_read_b128 v[76:79], v86 offset:1792
	s_waitcnt lgkmcnt(2)
	;;#ASMSTART
	
             v_fmac_f32 v4, v68, v72 
             
	;;#ASMEND
	;;#ASMSTART
	
             v_fmac_f32 v5, v68, v73 
             
	;;#ASMEND
	;; [unrolled: 5-line block ×16, first 2 shown]
	s_waitcnt lgkmcnt(1)
	;;#ASMSTART
	
             v_fmac_f32 v20, v68, v64 
             
	;;#ASMEND
	;;#ASMSTART
	
             v_fmac_f32 v21, v68, v65 
             
	;;#ASMEND
	;; [unrolled: 5-line block ×16, first 2 shown]
	ds_read_b128 v[68:71], v86 offset:2048
	s_waitcnt lgkmcnt(1)
	;;#ASMSTART
	
             v_fmac_f32 v32, v76, v72 
             
	;;#ASMEND
	;;#ASMSTART
	
             v_fmac_f32 v33, v76, v73 
             
	;;#ASMEND
	;; [unrolled: 5-line block ×16, first 2 shown]
	ds_read_b128 v[72:75], v87 offset:18432
	;;#ASMSTART
	
             v_fmac_f32 v52, v76, v64 
             
	;;#ASMEND
	;;#ASMSTART
	
             v_fmac_f32 v53, v76, v65 
             
	;;#ASMEND
	;; [unrolled: 5-line block ×16, first 2 shown]
	ds_read_b128 v[64:67], v87 offset:18688
	ds_read_b128 v[76:79], v86 offset:2304
	s_waitcnt lgkmcnt(2)
	;;#ASMSTART
	
             v_fmac_f32 v4, v68, v72 
             
	;;#ASMEND
	;;#ASMSTART
	
             v_fmac_f32 v5, v68, v73 
             
	;;#ASMEND
	;; [unrolled: 5-line block ×16, first 2 shown]
	s_waitcnt lgkmcnt(1)
	;;#ASMSTART
	
             v_fmac_f32 v20, v68, v64 
             
	;;#ASMEND
	;;#ASMSTART
	
             v_fmac_f32 v21, v68, v65 
             
	;;#ASMEND
	;;#ASMSTART
	
             v_fmac_f32 v22, v68, v66 
             
	;;#ASMEND
	;;#ASMSTART
	
             v_fmac_f32 v23, v68, v67 
             
	;;#ASMEND
	;;#ASMSTART
	
             v_fmac_f32 v24, v69, v64 
             
	;;#ASMEND
	;;#ASMSTART
	
             v_fmac_f32 v25, v69, v65 
             
	;;#ASMEND
	;;#ASMSTART
	
             v_fmac_f32 v26, v69, v66 
             
	;;#ASMEND
	;;#ASMSTART
	
             v_fmac_f32 v27, v69, v67 
             
	;;#ASMEND
	;;#ASMSTART
	
             v_fmac_f32 v28, v70, v64 
             
	;;#ASMEND
	;;#ASMSTART
	
             v_fmac_f32 v29, v70, v65 
             
	;;#ASMEND
	;;#ASMSTART
	
             v_fmac_f32 v30, v70, v66 
             
	;;#ASMEND
	;;#ASMSTART
	
             v_fmac_f32 v31, v70, v67 
             
	;;#ASMEND
	;;#ASMSTART
	
             v_fmac_f32 v36, v71, v64 
             
	;;#ASMEND
	;;#ASMSTART
	
             v_fmac_f32 v37, v71, v65 
             
	;;#ASMEND
	;;#ASMSTART
	
             v_fmac_f32 v38, v71, v66 
             
	;;#ASMEND
	;;#ASMSTART
	
             v_fmac_f32 v39, v71, v67 
             
	;;#ASMEND
	ds_read_b128 v[68:71], v86 offset:2560
	s_waitcnt lgkmcnt(1)
	;;#ASMSTART
	
             v_fmac_f32 v32, v76, v72 
             
	;;#ASMEND
	;;#ASMSTART
	
             v_fmac_f32 v33, v76, v73 
             
	;;#ASMEND
	;; [unrolled: 5-line block ×16, first 2 shown]
	ds_read_b128 v[72:75], v87 offset:18944
	;;#ASMSTART
	
             v_fmac_f32 v52, v76, v64 
             
	;;#ASMEND
	;;#ASMSTART
	
             v_fmac_f32 v53, v76, v65 
             
	;;#ASMEND
	;; [unrolled: 5-line block ×16, first 2 shown]
	ds_read_b128 v[64:67], v87 offset:19200
	ds_read_b128 v[76:79], v86 offset:2816
	s_waitcnt lgkmcnt(2)
	;;#ASMSTART
	
             v_fmac_f32 v4, v68, v72 
             
	;;#ASMEND
	;;#ASMSTART
	
             v_fmac_f32 v5, v68, v73 
             
	;;#ASMEND
	;; [unrolled: 5-line block ×16, first 2 shown]
	s_waitcnt lgkmcnt(1)
	;;#ASMSTART
	
             v_fmac_f32 v20, v68, v64 
             
	;;#ASMEND
	;;#ASMSTART
	
             v_fmac_f32 v21, v68, v65 
             
	;;#ASMEND
	;; [unrolled: 5-line block ×16, first 2 shown]
	ds_read_b128 v[68:71], v86 offset:3072
	s_waitcnt lgkmcnt(1)
	;;#ASMSTART
	
             v_fmac_f32 v32, v76, v72 
             
	;;#ASMEND
	;;#ASMSTART
	
             v_fmac_f32 v33, v76, v73 
             
	;;#ASMEND
	;; [unrolled: 5-line block ×16, first 2 shown]
	ds_read_b128 v[72:75], v87 offset:19456
	;;#ASMSTART
	
             v_fmac_f32 v52, v76, v64 
             
	;;#ASMEND
	;;#ASMSTART
	
             v_fmac_f32 v53, v76, v65 
             
	;;#ASMEND
	;; [unrolled: 5-line block ×16, first 2 shown]
	ds_read_b128 v[64:67], v87 offset:19712
	ds_read_b128 v[76:79], v86 offset:3328
	s_waitcnt lgkmcnt(2)
	;;#ASMSTART
	
             v_fmac_f32 v4, v68, v72 
             
	;;#ASMEND
	;;#ASMSTART
	
             v_fmac_f32 v5, v68, v73 
             
	;;#ASMEND
	;; [unrolled: 5-line block ×16, first 2 shown]
	s_waitcnt lgkmcnt(1)
	;;#ASMSTART
	
             v_fmac_f32 v20, v68, v64 
             
	;;#ASMEND
	;;#ASMSTART
	
             v_fmac_f32 v21, v68, v65 
             
	;;#ASMEND
	;; [unrolled: 5-line block ×16, first 2 shown]
	ds_read_b128 v[68:71], v86 offset:3584
	s_waitcnt lgkmcnt(1)
	;;#ASMSTART
	
             v_fmac_f32 v32, v76, v72 
             
	;;#ASMEND
	;;#ASMSTART
	
             v_fmac_f32 v33, v76, v73 
             
	;;#ASMEND
	;; [unrolled: 5-line block ×16, first 2 shown]
	ds_read_b128 v[72:75], v87 offset:19968
	;;#ASMSTART
	
             v_fmac_f32 v52, v76, v64 
             
	;;#ASMEND
	;;#ASMSTART
	
             v_fmac_f32 v53, v76, v65 
             
	;;#ASMEND
	;; [unrolled: 5-line block ×16, first 2 shown]
	ds_read_b128 v[64:67], v87 offset:20224
	ds_read_b128 v[76:79], v86 offset:3840
	s_waitcnt lgkmcnt(2)
	;;#ASMSTART
	
             v_fmac_f32 v4, v68, v72 
             
	;;#ASMEND
	;;#ASMSTART
	
             v_fmac_f32 v5, v68, v73 
             
	;;#ASMEND
	;; [unrolled: 5-line block ×16, first 2 shown]
	s_waitcnt lgkmcnt(1)
	;;#ASMSTART
	
             v_fmac_f32 v20, v68, v64 
             
	;;#ASMEND
	;;#ASMSTART
	
             v_fmac_f32 v21, v68, v65 
             
	;;#ASMEND
	;; [unrolled: 5-line block ×16, first 2 shown]
	ds_read_b128 v[68:71], v86 offset:4096
	s_waitcnt lgkmcnt(1)
	;;#ASMSTART
	
             v_fmac_f32 v32, v76, v72 
             
	;;#ASMEND
	;;#ASMSTART
	
             v_fmac_f32 v33, v76, v73 
             
	;;#ASMEND
	;; [unrolled: 5-line block ×16, first 2 shown]
	ds_read_b128 v[72:75], v87 offset:20480
	;;#ASMSTART
	
             v_fmac_f32 v52, v76, v64 
             
	;;#ASMEND
	;;#ASMSTART
	
             v_fmac_f32 v53, v76, v65 
             
	;;#ASMEND
	;; [unrolled: 5-line block ×16, first 2 shown]
	ds_read_b128 v[64:67], v87 offset:20736
	ds_read_b128 v[76:79], v86 offset:4352
	s_waitcnt lgkmcnt(2)
	;;#ASMSTART
	
             v_fmac_f32 v4, v68, v72 
             
	;;#ASMEND
	;;#ASMSTART
	
             v_fmac_f32 v5, v68, v73 
             
	;;#ASMEND
	;; [unrolled: 5-line block ×16, first 2 shown]
	s_waitcnt lgkmcnt(1)
	;;#ASMSTART
	
             v_fmac_f32 v20, v68, v64 
             
	;;#ASMEND
	;;#ASMSTART
	
             v_fmac_f32 v21, v68, v65 
             
	;;#ASMEND
	;;#ASMSTART
	
             v_fmac_f32 v22, v68, v66 
             
	;;#ASMEND
	;;#ASMSTART
	
             v_fmac_f32 v23, v68, v67 
             
	;;#ASMEND
	;;#ASMSTART
	
             v_fmac_f32 v24, v69, v64 
             
	;;#ASMEND
	;;#ASMSTART
	
             v_fmac_f32 v25, v69, v65 
             
	;;#ASMEND
	;;#ASMSTART
	
             v_fmac_f32 v26, v69, v66 
             
	;;#ASMEND
	;;#ASMSTART
	
             v_fmac_f32 v27, v69, v67 
             
	;;#ASMEND
	;;#ASMSTART
	
             v_fmac_f32 v28, v70, v64 
             
	;;#ASMEND
	;;#ASMSTART
	
             v_fmac_f32 v29, v70, v65 
             
	;;#ASMEND
	;;#ASMSTART
	
             v_fmac_f32 v30, v70, v66 
             
	;;#ASMEND
	;;#ASMSTART
	
             v_fmac_f32 v31, v70, v67 
             
	;;#ASMEND
	;;#ASMSTART
	
             v_fmac_f32 v36, v71, v64 
             
	;;#ASMEND
	;;#ASMSTART
	
             v_fmac_f32 v37, v71, v65 
             
	;;#ASMEND
	;;#ASMSTART
	
             v_fmac_f32 v38, v71, v66 
             
	;;#ASMEND
	;;#ASMSTART
	
             v_fmac_f32 v39, v71, v67 
             
	;;#ASMEND
	ds_read_b128 v[68:71], v86 offset:4608
	s_waitcnt lgkmcnt(1)
	;;#ASMSTART
	
             v_fmac_f32 v32, v76, v72 
             
	;;#ASMEND
	;;#ASMSTART
	
             v_fmac_f32 v33, v76, v73 
             
	;;#ASMEND
	;; [unrolled: 5-line block ×16, first 2 shown]
	ds_read_b128 v[72:75], v87 offset:20992
	;;#ASMSTART
	
             v_fmac_f32 v52, v76, v64 
             
	;;#ASMEND
	;;#ASMSTART
	
             v_fmac_f32 v53, v76, v65 
             
	;;#ASMEND
	;; [unrolled: 5-line block ×16, first 2 shown]
	ds_read_b128 v[64:67], v87 offset:21248
	ds_read_b128 v[76:79], v86 offset:4864
	s_waitcnt lgkmcnt(2)
	;;#ASMSTART
	
             v_fmac_f32 v4, v68, v72 
             
	;;#ASMEND
	;;#ASMSTART
	
             v_fmac_f32 v5, v68, v73 
             
	;;#ASMEND
	;; [unrolled: 5-line block ×16, first 2 shown]
	s_waitcnt lgkmcnt(1)
	;;#ASMSTART
	
             v_fmac_f32 v20, v68, v64 
             
	;;#ASMEND
	;;#ASMSTART
	
             v_fmac_f32 v21, v68, v65 
             
	;;#ASMEND
	;;#ASMSTART
	
             v_fmac_f32 v22, v68, v66 
             
	;;#ASMEND
	;;#ASMSTART
	
             v_fmac_f32 v23, v68, v67 
             
	;;#ASMEND
	;;#ASMSTART
	
             v_fmac_f32 v24, v69, v64 
             
	;;#ASMEND
	;;#ASMSTART
	
             v_fmac_f32 v25, v69, v65 
             
	;;#ASMEND
	;;#ASMSTART
	
             v_fmac_f32 v26, v69, v66 
             
	;;#ASMEND
	;;#ASMSTART
	
             v_fmac_f32 v27, v69, v67 
             
	;;#ASMEND
	;;#ASMSTART
	
             v_fmac_f32 v28, v70, v64 
             
	;;#ASMEND
	;;#ASMSTART
	
             v_fmac_f32 v29, v70, v65 
             
	;;#ASMEND
	;;#ASMSTART
	
             v_fmac_f32 v30, v70, v66 
             
	;;#ASMEND
	;;#ASMSTART
	
             v_fmac_f32 v31, v70, v67 
             
	;;#ASMEND
	;;#ASMSTART
	
             v_fmac_f32 v36, v71, v64 
             
	;;#ASMEND
	;;#ASMSTART
	
             v_fmac_f32 v37, v71, v65 
             
	;;#ASMEND
	;;#ASMSTART
	
             v_fmac_f32 v38, v71, v66 
             
	;;#ASMEND
	;;#ASMSTART
	
             v_fmac_f32 v39, v71, v67 
             
	;;#ASMEND
	ds_read_b128 v[68:71], v86 offset:5120
	s_waitcnt lgkmcnt(1)
	;;#ASMSTART
	
             v_fmac_f32 v32, v76, v72 
             
	;;#ASMEND
	;;#ASMSTART
	
             v_fmac_f32 v33, v76, v73 
             
	;;#ASMEND
	;; [unrolled: 5-line block ×16, first 2 shown]
	ds_read_b128 v[72:75], v87 offset:21504
	;;#ASMSTART
	
             v_fmac_f32 v52, v76, v64 
             
	;;#ASMEND
	;;#ASMSTART
	
             v_fmac_f32 v53, v76, v65 
             
	;;#ASMEND
	;;#ASMSTART
	
             v_fmac_f32 v54, v76, v66 
             
	;;#ASMEND
	;;#ASMSTART
	
             v_fmac_f32 v55, v76, v67 
             
	;;#ASMEND
	;;#ASMSTART
	
             v_fmac_f32 v56, v77, v64 
             
	;;#ASMEND
	;;#ASMSTART
	
             v_fmac_f32 v57, v77, v65 
             
	;;#ASMEND
	;;#ASMSTART
	
             v_fmac_f32 v58, v77, v66 
             
	;;#ASMEND
	;;#ASMSTART
	
             v_fmac_f32 v59, v77, v67 
             
	;;#ASMEND
	;;#ASMSTART
	
             v_fmac_f32 v60, v78, v64 
             
	;;#ASMEND
	;;#ASMSTART
	
             v_fmac_f32 v61, v78, v65 
             
	;;#ASMEND
	;;#ASMSTART
	
             v_fmac_f32 v62, v78, v66 
             
	;;#ASMEND
	;;#ASMSTART
	
             v_fmac_f32 v63, v78, v67 
             
	;;#ASMEND
	;;#ASMSTART
	
             v_fmac_f32 v0, v79, v64 
             
	;;#ASMEND
	;;#ASMSTART
	
             v_fmac_f32 v1, v79, v65 
             
	;;#ASMEND
	;;#ASMSTART
	
             v_fmac_f32 v2, v79, v66 
             
	;;#ASMEND
	;;#ASMSTART
	
             v_fmac_f32 v3, v79, v67 
             
	;;#ASMEND
	ds_read_b128 v[64:67], v87 offset:21760
	ds_read_b128 v[76:79], v86 offset:5376
	s_waitcnt lgkmcnt(2)
	;;#ASMSTART
	
             v_fmac_f32 v4, v68, v72 
             
	;;#ASMEND
	;;#ASMSTART
	
             v_fmac_f32 v5, v68, v73 
             
	;;#ASMEND
	;;#ASMSTART
	
             v_fmac_f32 v6, v68, v74 
             
	;;#ASMEND
	;;#ASMSTART
	
             v_fmac_f32 v7, v68, v75 
             
	;;#ASMEND
	;;#ASMSTART
	
             v_fmac_f32 v8, v69, v72 
             
	;;#ASMEND
	;;#ASMSTART
	
             v_fmac_f32 v9, v69, v73 
             
	;;#ASMEND
	;;#ASMSTART
	
             v_fmac_f32 v10, v69, v74 
             
	;;#ASMEND
	;;#ASMSTART
	
             v_fmac_f32 v11, v69, v75 
             
	;;#ASMEND
	;;#ASMSTART
	
             v_fmac_f32 v12, v70, v72 
             
	;;#ASMEND
	;;#ASMSTART
	
             v_fmac_f32 v13, v70, v73 
             
	;;#ASMEND
	;;#ASMSTART
	
             v_fmac_f32 v14, v70, v74 
             
	;;#ASMEND
	;;#ASMSTART
	
             v_fmac_f32 v15, v70, v75 
             
	;;#ASMEND
	;;#ASMSTART
	
             v_fmac_f32 v16, v71, v72 
             
	;;#ASMEND
	;;#ASMSTART
	
             v_fmac_f32 v17, v71, v73 
             
	;;#ASMEND
	;;#ASMSTART
	
             v_fmac_f32 v18, v71, v74 
             
	;;#ASMEND
	;;#ASMSTART
	
             v_fmac_f32 v19, v71, v75 
             
	;;#ASMEND
	s_waitcnt lgkmcnt(1)
	;;#ASMSTART
	
             v_fmac_f32 v20, v68, v64 
             
	;;#ASMEND
	;;#ASMSTART
	
             v_fmac_f32 v21, v68, v65 
             
	;;#ASMEND
	;; [unrolled: 5-line block ×16, first 2 shown]
	ds_read_b128 v[68:71], v86 offset:5632
	s_waitcnt lgkmcnt(1)
	;;#ASMSTART
	
             v_fmac_f32 v32, v76, v72 
             
	;;#ASMEND
	;;#ASMSTART
	
             v_fmac_f32 v33, v76, v73 
             
	;;#ASMEND
	;; [unrolled: 5-line block ×16, first 2 shown]
	ds_read_b128 v[72:75], v87 offset:22016
	;;#ASMSTART
	
             v_fmac_f32 v52, v76, v64 
             
	;;#ASMEND
	;;#ASMSTART
	
             v_fmac_f32 v53, v76, v65 
             
	;;#ASMEND
	;; [unrolled: 5-line block ×16, first 2 shown]
	ds_read_b128 v[64:67], v87 offset:22272
	ds_read_b128 v[76:79], v86 offset:5888
	s_waitcnt lgkmcnt(2)
	;;#ASMSTART
	
             v_fmac_f32 v4, v68, v72 
             
	;;#ASMEND
	;;#ASMSTART
	
             v_fmac_f32 v5, v68, v73 
             
	;;#ASMEND
	;; [unrolled: 5-line block ×16, first 2 shown]
	s_waitcnt lgkmcnt(1)
	;;#ASMSTART
	
             v_fmac_f32 v20, v68, v64 
             
	;;#ASMEND
	;;#ASMSTART
	
             v_fmac_f32 v21, v68, v65 
             
	;;#ASMEND
	;; [unrolled: 5-line block ×16, first 2 shown]
	ds_read_b128 v[68:71], v86 offset:6144
	s_waitcnt lgkmcnt(1)
	;;#ASMSTART
	
             v_fmac_f32 v32, v76, v72 
             
	;;#ASMEND
	;;#ASMSTART
	
             v_fmac_f32 v33, v76, v73 
             
	;;#ASMEND
	;; [unrolled: 5-line block ×16, first 2 shown]
	ds_read_b128 v[72:75], v87 offset:22528
	;;#ASMSTART
	
             v_fmac_f32 v52, v76, v64 
             
	;;#ASMEND
	;;#ASMSTART
	
             v_fmac_f32 v53, v76, v65 
             
	;;#ASMEND
	;; [unrolled: 5-line block ×16, first 2 shown]
	ds_read_b128 v[64:67], v87 offset:22784
	ds_read_b128 v[76:79], v86 offset:6400
	s_waitcnt lgkmcnt(2)
	;;#ASMSTART
	
             v_fmac_f32 v4, v68, v72 
             
	;;#ASMEND
	;;#ASMSTART
	
             v_fmac_f32 v5, v68, v73 
             
	;;#ASMEND
	;; [unrolled: 5-line block ×16, first 2 shown]
	s_waitcnt lgkmcnt(1)
	;;#ASMSTART
	
             v_fmac_f32 v20, v68, v64 
             
	;;#ASMEND
	;;#ASMSTART
	
             v_fmac_f32 v21, v68, v65 
             
	;;#ASMEND
	;; [unrolled: 5-line block ×16, first 2 shown]
	ds_read_b128 v[68:71], v86 offset:6656
	s_waitcnt lgkmcnt(1)
	;;#ASMSTART
	
             v_fmac_f32 v32, v76, v72 
             
	;;#ASMEND
	;;#ASMSTART
	
             v_fmac_f32 v33, v76, v73 
             
	;;#ASMEND
	;; [unrolled: 5-line block ×16, first 2 shown]
	ds_read_b128 v[72:75], v87 offset:23040
	;;#ASMSTART
	
             v_fmac_f32 v52, v76, v64 
             
	;;#ASMEND
	;;#ASMSTART
	
             v_fmac_f32 v53, v76, v65 
             
	;;#ASMEND
	;; [unrolled: 5-line block ×16, first 2 shown]
	ds_read_b128 v[64:67], v87 offset:23296
	ds_read_b128 v[76:79], v86 offset:6912
	s_waitcnt lgkmcnt(2)
	;;#ASMSTART
	
             v_fmac_f32 v4, v68, v72 
             
	;;#ASMEND
	;;#ASMSTART
	
             v_fmac_f32 v5, v68, v73 
             
	;;#ASMEND
	;; [unrolled: 5-line block ×16, first 2 shown]
	s_waitcnt lgkmcnt(1)
	;;#ASMSTART
	
             v_fmac_f32 v20, v68, v64 
             
	;;#ASMEND
	;;#ASMSTART
	
             v_fmac_f32 v21, v68, v65 
             
	;;#ASMEND
	;; [unrolled: 5-line block ×16, first 2 shown]
	ds_read_b128 v[68:71], v86 offset:7168
	s_waitcnt lgkmcnt(1)
	;;#ASMSTART
	
             v_fmac_f32 v32, v76, v72 
             
	;;#ASMEND
	;;#ASMSTART
	
             v_fmac_f32 v33, v76, v73 
             
	;;#ASMEND
	;; [unrolled: 5-line block ×16, first 2 shown]
	ds_read_b128 v[72:75], v87 offset:23552
	;;#ASMSTART
	
             v_fmac_f32 v52, v76, v64 
             
	;;#ASMEND
	;;#ASMSTART
	
             v_fmac_f32 v53, v76, v65 
             
	;;#ASMEND
	;; [unrolled: 5-line block ×16, first 2 shown]
	ds_read_b128 v[64:67], v87 offset:23808
	ds_read_b128 v[80:83], v86 offset:7424
	s_waitcnt lgkmcnt(2)
	;;#ASMSTART
	
             v_fmac_f32 v4, v68, v72 
             
	;;#ASMEND
	;;#ASMSTART
	
             v_fmac_f32 v5, v68, v73 
             
	;;#ASMEND
	;; [unrolled: 5-line block ×16, first 2 shown]
	s_waitcnt lgkmcnt(1)
	;;#ASMSTART
	
             v_fmac_f32 v20, v68, v64 
             
	;;#ASMEND
	;;#ASMSTART
	
             v_fmac_f32 v21, v68, v65 
             
	;;#ASMEND
	;; [unrolled: 5-line block ×16, first 2 shown]
	ds_read_b128 v[76:79], v86 offset:7680
	s_waitcnt lgkmcnt(1)
	;;#ASMSTART
	
             v_fmac_f32 v32, v80, v72 
             
	;;#ASMEND
	;;#ASMSTART
	
             v_fmac_f32 v33, v80, v73 
             
	;;#ASMEND
	;;#ASMSTART
	
             v_fmac_f32 v34, v80, v74 
             
	;;#ASMEND
	;;#ASMSTART
	
             v_fmac_f32 v35, v80, v75 
             
	;;#ASMEND
	;;#ASMSTART
	
             v_fmac_f32 v40, v81, v72 
             
	;;#ASMEND
	;;#ASMSTART
	
             v_fmac_f32 v41, v81, v73 
             
	;;#ASMEND
	;;#ASMSTART
	
             v_fmac_f32 v42, v81, v74 
             
	;;#ASMEND
	;;#ASMSTART
	
             v_fmac_f32 v43, v81, v75 
             
	;;#ASMEND
	;;#ASMSTART
	
             v_fmac_f32 v44, v82, v72 
             
	;;#ASMEND
	;;#ASMSTART
	
             v_fmac_f32 v45, v82, v73 
             
	;;#ASMEND
	;;#ASMSTART
	
             v_fmac_f32 v46, v82, v74 
             
	;;#ASMEND
	;;#ASMSTART
	
             v_fmac_f32 v47, v82, v75 
             
	;;#ASMEND
	;;#ASMSTART
	
             v_fmac_f32 v48, v83, v72 
             
	;;#ASMEND
	;;#ASMSTART
	
             v_fmac_f32 v49, v83, v73 
             
	;;#ASMEND
	;;#ASMSTART
	
             v_fmac_f32 v50, v83, v74 
             
	;;#ASMEND
	;;#ASMSTART
	
             v_fmac_f32 v51, v83, v75 
             
	;;#ASMEND
	ds_read_b128 v[72:75], v87 offset:24064
	;;#ASMSTART
	
             v_fmac_f32 v52, v80, v64 
             
	;;#ASMEND
	;;#ASMSTART
	
             v_fmac_f32 v53, v80, v65 
             
	;;#ASMEND
	;; [unrolled: 5-line block ×16, first 2 shown]
	ds_read_b128 v[64:67], v87 offset:24320
	ds_read_b128 v[68:71], v86 offset:7936
	s_waitcnt lgkmcnt(2)
	;;#ASMSTART
	
             v_fmac_f32 v4, v76, v72 
             
	;;#ASMEND
	;;#ASMSTART
	
             v_fmac_f32 v5, v76, v73 
             
	;;#ASMEND
	;; [unrolled: 5-line block ×16, first 2 shown]
	s_waitcnt lgkmcnt(1)
	;;#ASMSTART
	
             v_fmac_f32 v20, v76, v64 
             
	;;#ASMEND
	;;#ASMSTART
	
             v_fmac_f32 v21, v76, v65 
             
	;;#ASMEND
	;;#ASMSTART
	
             v_fmac_f32 v22, v76, v66 
             
	;;#ASMEND
	;;#ASMSTART
	
             v_fmac_f32 v23, v76, v67 
             
	;;#ASMEND
	;;#ASMSTART
	
             v_fmac_f32 v24, v77, v64 
             
	;;#ASMEND
	;;#ASMSTART
	
             v_fmac_f32 v25, v77, v65 
             
	;;#ASMEND
	;;#ASMSTART
	
             v_fmac_f32 v26, v77, v66 
             
	;;#ASMEND
	;;#ASMSTART
	
             v_fmac_f32 v27, v77, v67 
             
	;;#ASMEND
	;;#ASMSTART
	
             v_fmac_f32 v28, v78, v64 
             
	;;#ASMEND
	;;#ASMSTART
	
             v_fmac_f32 v29, v78, v65 
             
	;;#ASMEND
	;;#ASMSTART
	
             v_fmac_f32 v30, v78, v66 
             
	;;#ASMEND
	;;#ASMSTART
	
             v_fmac_f32 v31, v78, v67 
             
	;;#ASMEND
	;;#ASMSTART
	
             v_fmac_f32 v36, v79, v64 
             
	;;#ASMEND
	;;#ASMSTART
	
             v_fmac_f32 v37, v79, v65 
             
	;;#ASMEND
	;;#ASMSTART
	
             v_fmac_f32 v38, v79, v66 
             
	;;#ASMEND
	;;#ASMSTART
	
             v_fmac_f32 v39, v79, v67 
             
	;;#ASMEND
	s_waitcnt lgkmcnt(0)
	;;#ASMSTART
	
             v_fmac_f32 v32, v68, v72 
             
	;;#ASMEND
	;;#ASMSTART
	
             v_fmac_f32 v33, v68, v73 
             
	;;#ASMEND
	;; [unrolled: 5-line block ×29, first 2 shown]
	v_or_b32_e32 v64, s13, v85
	v_mul_lo_u32 v64, v64, s12
	;;#ASMSTART
	
             v_fmac_f32 v1, v71, v65 
             
	;;#ASMEND
	;;#ASMSTART
	
             v_fmac_f32 v2, v71, v66 
             
	;;#ASMEND
	;; [unrolled: 5-line block ×3, first 2 shown]
	v_add3_u32 v64, s3, v84, v64
	s_mov_b32 s3, s7
	v_lshlrev_b32_e32 v65, 2, v64
	buffer_store_dwordx4 v[4:7], v65, s[0:3], 0 offen
	s_nop 0
	v_add_u32_e32 v4, 64, v64
	v_lshlrev_b32_e32 v5, 2, v4
	v_add_lshl_u32 v4, v4, s12, 2
	buffer_store_dwordx4 v[20:23], v5, s[0:3], 0 offen
	buffer_store_dwordx4 v[24:27], v4, s[0:3], 0 offen
	v_add_u32_e32 v4, s12, v64
	v_lshlrev_b32_e32 v5, 2, v4
	v_add_u32_e32 v4, s12, v4
	buffer_store_dwordx4 v[8:11], v5, s[0:3], 0 offen
	v_lshlrev_b32_e32 v5, 2, v4
	buffer_store_dwordx4 v[12:15], v5, s[0:3], 0 offen
	v_add_u32_e32 v5, 64, v4
	v_lshlrev_b32_e32 v6, 2, v5
	v_add_lshl_u32 v5, v5, s12, 2
	v_add_u32_e32 v4, s12, v4
	buffer_store_dwordx4 v[28:31], v6, s[0:3], 0 offen
	buffer_store_dwordx4 v[36:39], v5, s[0:3], 0 offen
	v_lshlrev_b32_e32 v5, 2, v4
	v_lshl_add_u32 v4, s12, 6, v4
	buffer_store_dwordx4 v[16:19], v5, s[0:3], 0 offen
	v_lshlrev_b32_e32 v5, 2, v4
	v_add_u32_e32 v4, 64, v4
	buffer_store_dwordx4 v[48:51], v5, s[0:3], 0 offen
	v_lshlrev_b32_e32 v5, 2, v4
	buffer_store_dwordx4 v[0:3], v5, s[0:3], 0 offen
	s_nop 0
	v_subrev_u32_e32 v0, s12, v4
	v_lshlrev_b32_e32 v1, 2, v0
	v_subrev_u32_e32 v0, 64, v0
	buffer_store_dwordx4 v[60:63], v1, s[0:3], 0 offen
	v_lshlrev_b32_e32 v1, 2, v0
	v_subrev_u32_e32 v0, s12, v0
	buffer_store_dwordx4 v[44:47], v1, s[0:3], 0 offen
	v_lshlrev_b32_e32 v1, 2, v0
	v_add_u32_e32 v0, 64, v0
	buffer_store_dwordx4 v[40:43], v1, s[0:3], 0 offen
	v_lshlrev_b32_e32 v1, 2, v0
	v_subrev_u32_e32 v0, s12, v0
	v_lshlrev_b32_e32 v0, 2, v0
	buffer_store_dwordx4 v[56:59], v1, s[0:3], 0 offen
	buffer_store_dwordx4 v[52:55], v0, s[0:3], 0 offen
	v_add_u32_e32 v0, 0xffffff00, v0
	buffer_store_dwordx4 v[32:35], v0, s[0:3], 0 offen
	s_endpgm
	.section	.rodata,"a",@progbits
	.p2align	6, 0x0
	.amdhsa_kernel _ZN2ck19kernel_gemm_dl_v1r3INS_28GridwiseGemmDl_km_kn_mn_v1r3ILi256EfffLNS_25InMemoryDataOperationEnumE0ENS_16TensorDescriptorINS_5TupleIJNS_5EmbedINS4_IJiiEEENS4_IJNS_17integral_constantIiLi1EEEiEEELb0EEENS_7UnMergeINS4_IJiS8_EEELb0EEENS_11PassThroughIiEEEEENS4_IJNS_8SequenceIJLi0EEEENSH_IJLi2EEEENSH_IJLi1EEEEEEENS4_IJNSH_IJLi1ELi2EEEENSH_IJLi3ELi4EEEENSH_IJLi5EEEEEEENSH_IJLi3ELi5ELi4EEEElEENS3_INS4_IJNS5_IS6_SC_Lb0EEESD_SF_EEENS4_IJSI_SK_SJ_EEESP_SQ_lEENS3_INS4_IJSS_SF_SF_EEESU_NS4_IJSM_NSH_IJLi3EEEENSH_IJLi4EEEEEEESN_lEELi128ELi128ELi16ELi1ELi4ELi4ELi1ENSH_IJLi8ELi2EEEES11_NSH_IJLi2ELi1ELi4ELi1EEEENSH_IJLi8ELi1ELi32ELi1EEEENSH_IJLi0ELi3ELi1ELi2EEEES14_NSH_IJLi1ELi1ELi4ELi1EEEES14_S15_S12_S13_S14_S14_S15_S14_S15_NSH_IJLi0ELi1ELi2ELi3ELi4ELi5EEEELi5ELi4EEEffNS3_INS4_IJSA_SD_SF_SF_NSB_INS4_IJiNS7_IiLi128EEEEEELb0EEENSE_IS8_EEEEENS4_IJSI_SJ_SK_SX_SO_SY_EEENS4_IJSM_SN_SO_NSH_IJLi6EEEENSH_IJLi7ELi8EEEENSH_IJLi9EEEEEEENSH_IJLi6ELi7ELi8ELi9EEEElEENS3_INS4_IJSS_SD_SF_SF_S1A_S1B_EEENS4_IJSI_SK_SJ_SX_SO_SY_EEES1H_S1I_lEENS3_INS4_IJSS_SF_SF_NSB_INS4_IJiNS7_IiLi2EEENS7_IiLi64EEEEEELb0EEES1Q_EEENS4_IJSI_SK_SJ_SX_SY_EEENS4_IJSM_SX_SY_NSH_IJLi5ELi6ELi7EEEENSH_IJLi8ELi9ELi10EEEEEEENSH_IJLi5ELi6ELi7ELi8ELi9ELi10EEEElEENS_31BlockToCTileMap_M00_N00_M01_N01ILi128ELi128ES10_Lb0EEELb0ELb0EEEvPKT0_S22_PT1_T2_T3_T4_T5_
		.amdhsa_group_segment_fixed_size 32768
		.amdhsa_private_segment_fixed_size 0
		.amdhsa_kernarg_size 328
		.amdhsa_user_sgpr_count 6
		.amdhsa_user_sgpr_private_segment_buffer 1
		.amdhsa_user_sgpr_dispatch_ptr 0
		.amdhsa_user_sgpr_queue_ptr 0
		.amdhsa_user_sgpr_kernarg_segment_ptr 1
		.amdhsa_user_sgpr_dispatch_id 0
		.amdhsa_user_sgpr_flat_scratch_init 0
		.amdhsa_user_sgpr_private_segment_size 0
		.amdhsa_uses_dynamic_stack 0
		.amdhsa_system_sgpr_private_segment_wavefront_offset 0
		.amdhsa_system_sgpr_workgroup_id_x 1
		.amdhsa_system_sgpr_workgroup_id_y 0
		.amdhsa_system_sgpr_workgroup_id_z 0
		.amdhsa_system_sgpr_workgroup_info 0
		.amdhsa_system_vgpr_workitem_id 0
		.amdhsa_next_free_vgpr 88
		.amdhsa_next_free_sgpr 98
		.amdhsa_reserve_vcc 0
		.amdhsa_reserve_flat_scratch 0
		.amdhsa_float_round_mode_32 0
		.amdhsa_float_round_mode_16_64 0
		.amdhsa_float_denorm_mode_32 3
		.amdhsa_float_denorm_mode_16_64 3
		.amdhsa_dx10_clamp 1
		.amdhsa_ieee_mode 1
		.amdhsa_fp16_overflow 0
		.amdhsa_exception_fp_ieee_invalid_op 0
		.amdhsa_exception_fp_denorm_src 0
		.amdhsa_exception_fp_ieee_div_zero 0
		.amdhsa_exception_fp_ieee_overflow 0
		.amdhsa_exception_fp_ieee_underflow 0
		.amdhsa_exception_fp_ieee_inexact 0
		.amdhsa_exception_int_div_zero 0
	.end_amdhsa_kernel
	.section	.text._ZN2ck19kernel_gemm_dl_v1r3INS_28GridwiseGemmDl_km_kn_mn_v1r3ILi256EfffLNS_25InMemoryDataOperationEnumE0ENS_16TensorDescriptorINS_5TupleIJNS_5EmbedINS4_IJiiEEENS4_IJNS_17integral_constantIiLi1EEEiEEELb0EEENS_7UnMergeINS4_IJiS8_EEELb0EEENS_11PassThroughIiEEEEENS4_IJNS_8SequenceIJLi0EEEENSH_IJLi2EEEENSH_IJLi1EEEEEEENS4_IJNSH_IJLi1ELi2EEEENSH_IJLi3ELi4EEEENSH_IJLi5EEEEEEENSH_IJLi3ELi5ELi4EEEElEENS3_INS4_IJNS5_IS6_SC_Lb0EEESD_SF_EEENS4_IJSI_SK_SJ_EEESP_SQ_lEENS3_INS4_IJSS_SF_SF_EEESU_NS4_IJSM_NSH_IJLi3EEEENSH_IJLi4EEEEEEESN_lEELi128ELi128ELi16ELi1ELi4ELi4ELi1ENSH_IJLi8ELi2EEEES11_NSH_IJLi2ELi1ELi4ELi1EEEENSH_IJLi8ELi1ELi32ELi1EEEENSH_IJLi0ELi3ELi1ELi2EEEES14_NSH_IJLi1ELi1ELi4ELi1EEEES14_S15_S12_S13_S14_S14_S15_S14_S15_NSH_IJLi0ELi1ELi2ELi3ELi4ELi5EEEELi5ELi4EEEffNS3_INS4_IJSA_SD_SF_SF_NSB_INS4_IJiNS7_IiLi128EEEEEELb0EEENSE_IS8_EEEEENS4_IJSI_SJ_SK_SX_SO_SY_EEENS4_IJSM_SN_SO_NSH_IJLi6EEEENSH_IJLi7ELi8EEEENSH_IJLi9EEEEEEENSH_IJLi6ELi7ELi8ELi9EEEElEENS3_INS4_IJSS_SD_SF_SF_S1A_S1B_EEENS4_IJSI_SK_SJ_SX_SO_SY_EEES1H_S1I_lEENS3_INS4_IJSS_SF_SF_NSB_INS4_IJiNS7_IiLi2EEENS7_IiLi64EEEEEELb0EEES1Q_EEENS4_IJSI_SK_SJ_SX_SY_EEENS4_IJSM_SX_SY_NSH_IJLi5ELi6ELi7EEEENSH_IJLi8ELi9ELi10EEEEEEENSH_IJLi5ELi6ELi7ELi8ELi9ELi10EEEElEENS_31BlockToCTileMap_M00_N00_M01_N01ILi128ELi128ES10_Lb0EEELb0ELb0EEEvPKT0_S22_PT1_T2_T3_T4_T5_,"axG",@progbits,_ZN2ck19kernel_gemm_dl_v1r3INS_28GridwiseGemmDl_km_kn_mn_v1r3ILi256EfffLNS_25InMemoryDataOperationEnumE0ENS_16TensorDescriptorINS_5TupleIJNS_5EmbedINS4_IJiiEEENS4_IJNS_17integral_constantIiLi1EEEiEEELb0EEENS_7UnMergeINS4_IJiS8_EEELb0EEENS_11PassThroughIiEEEEENS4_IJNS_8SequenceIJLi0EEEENSH_IJLi2EEEENSH_IJLi1EEEEEEENS4_IJNSH_IJLi1ELi2EEEENSH_IJLi3ELi4EEEENSH_IJLi5EEEEEEENSH_IJLi3ELi5ELi4EEEElEENS3_INS4_IJNS5_IS6_SC_Lb0EEESD_SF_EEENS4_IJSI_SK_SJ_EEESP_SQ_lEENS3_INS4_IJSS_SF_SF_EEESU_NS4_IJSM_NSH_IJLi3EEEENSH_IJLi4EEEEEEESN_lEELi128ELi128ELi16ELi1ELi4ELi4ELi1ENSH_IJLi8ELi2EEEES11_NSH_IJLi2ELi1ELi4ELi1EEEENSH_IJLi8ELi1ELi32ELi1EEEENSH_IJLi0ELi3ELi1ELi2EEEES14_NSH_IJLi1ELi1ELi4ELi1EEEES14_S15_S12_S13_S14_S14_S15_S14_S15_NSH_IJLi0ELi1ELi2ELi3ELi4ELi5EEEELi5ELi4EEEffNS3_INS4_IJSA_SD_SF_SF_NSB_INS4_IJiNS7_IiLi128EEEEEELb0EEENSE_IS8_EEEEENS4_IJSI_SJ_SK_SX_SO_SY_EEENS4_IJSM_SN_SO_NSH_IJLi6EEEENSH_IJLi7ELi8EEEENSH_IJLi9EEEEEEENSH_IJLi6ELi7ELi8ELi9EEEElEENS3_INS4_IJSS_SD_SF_SF_S1A_S1B_EEENS4_IJSI_SK_SJ_SX_SO_SY_EEES1H_S1I_lEENS3_INS4_IJSS_SF_SF_NSB_INS4_IJiNS7_IiLi2EEENS7_IiLi64EEEEEELb0EEES1Q_EEENS4_IJSI_SK_SJ_SX_SY_EEENS4_IJSM_SX_SY_NSH_IJLi5ELi6ELi7EEEENSH_IJLi8ELi9ELi10EEEEEEENSH_IJLi5ELi6ELi7ELi8ELi9ELi10EEEElEENS_31BlockToCTileMap_M00_N00_M01_N01ILi128ELi128ES10_Lb0EEELb0ELb0EEEvPKT0_S22_PT1_T2_T3_T4_T5_,comdat
.Lfunc_end4:
	.size	_ZN2ck19kernel_gemm_dl_v1r3INS_28GridwiseGemmDl_km_kn_mn_v1r3ILi256EfffLNS_25InMemoryDataOperationEnumE0ENS_16TensorDescriptorINS_5TupleIJNS_5EmbedINS4_IJiiEEENS4_IJNS_17integral_constantIiLi1EEEiEEELb0EEENS_7UnMergeINS4_IJiS8_EEELb0EEENS_11PassThroughIiEEEEENS4_IJNS_8SequenceIJLi0EEEENSH_IJLi2EEEENSH_IJLi1EEEEEEENS4_IJNSH_IJLi1ELi2EEEENSH_IJLi3ELi4EEEENSH_IJLi5EEEEEEENSH_IJLi3ELi5ELi4EEEElEENS3_INS4_IJNS5_IS6_SC_Lb0EEESD_SF_EEENS4_IJSI_SK_SJ_EEESP_SQ_lEENS3_INS4_IJSS_SF_SF_EEESU_NS4_IJSM_NSH_IJLi3EEEENSH_IJLi4EEEEEEESN_lEELi128ELi128ELi16ELi1ELi4ELi4ELi1ENSH_IJLi8ELi2EEEES11_NSH_IJLi2ELi1ELi4ELi1EEEENSH_IJLi8ELi1ELi32ELi1EEEENSH_IJLi0ELi3ELi1ELi2EEEES14_NSH_IJLi1ELi1ELi4ELi1EEEES14_S15_S12_S13_S14_S14_S15_S14_S15_NSH_IJLi0ELi1ELi2ELi3ELi4ELi5EEEELi5ELi4EEEffNS3_INS4_IJSA_SD_SF_SF_NSB_INS4_IJiNS7_IiLi128EEEEEELb0EEENSE_IS8_EEEEENS4_IJSI_SJ_SK_SX_SO_SY_EEENS4_IJSM_SN_SO_NSH_IJLi6EEEENSH_IJLi7ELi8EEEENSH_IJLi9EEEEEEENSH_IJLi6ELi7ELi8ELi9EEEElEENS3_INS4_IJSS_SD_SF_SF_S1A_S1B_EEENS4_IJSI_SK_SJ_SX_SO_SY_EEES1H_S1I_lEENS3_INS4_IJSS_SF_SF_NSB_INS4_IJiNS7_IiLi2EEENS7_IiLi64EEEEEELb0EEES1Q_EEENS4_IJSI_SK_SJ_SX_SY_EEENS4_IJSM_SX_SY_NSH_IJLi5ELi6ELi7EEEENSH_IJLi8ELi9ELi10EEEEEEENSH_IJLi5ELi6ELi7ELi8ELi9ELi10EEEElEENS_31BlockToCTileMap_M00_N00_M01_N01ILi128ELi128ES10_Lb0EEELb0ELb0EEEvPKT0_S22_PT1_T2_T3_T4_T5_, .Lfunc_end4-_ZN2ck19kernel_gemm_dl_v1r3INS_28GridwiseGemmDl_km_kn_mn_v1r3ILi256EfffLNS_25InMemoryDataOperationEnumE0ENS_16TensorDescriptorINS_5TupleIJNS_5EmbedINS4_IJiiEEENS4_IJNS_17integral_constantIiLi1EEEiEEELb0EEENS_7UnMergeINS4_IJiS8_EEELb0EEENS_11PassThroughIiEEEEENS4_IJNS_8SequenceIJLi0EEEENSH_IJLi2EEEENSH_IJLi1EEEEEEENS4_IJNSH_IJLi1ELi2EEEENSH_IJLi3ELi4EEEENSH_IJLi5EEEEEEENSH_IJLi3ELi5ELi4EEEElEENS3_INS4_IJNS5_IS6_SC_Lb0EEESD_SF_EEENS4_IJSI_SK_SJ_EEESP_SQ_lEENS3_INS4_IJSS_SF_SF_EEESU_NS4_IJSM_NSH_IJLi3EEEENSH_IJLi4EEEEEEESN_lEELi128ELi128ELi16ELi1ELi4ELi4ELi1ENSH_IJLi8ELi2EEEES11_NSH_IJLi2ELi1ELi4ELi1EEEENSH_IJLi8ELi1ELi32ELi1EEEENSH_IJLi0ELi3ELi1ELi2EEEES14_NSH_IJLi1ELi1ELi4ELi1EEEES14_S15_S12_S13_S14_S14_S15_S14_S15_NSH_IJLi0ELi1ELi2ELi3ELi4ELi5EEEELi5ELi4EEEffNS3_INS4_IJSA_SD_SF_SF_NSB_INS4_IJiNS7_IiLi128EEEEEELb0EEENSE_IS8_EEEEENS4_IJSI_SJ_SK_SX_SO_SY_EEENS4_IJSM_SN_SO_NSH_IJLi6EEEENSH_IJLi7ELi8EEEENSH_IJLi9EEEEEEENSH_IJLi6ELi7ELi8ELi9EEEElEENS3_INS4_IJSS_SD_SF_SF_S1A_S1B_EEENS4_IJSI_SK_SJ_SX_SO_SY_EEES1H_S1I_lEENS3_INS4_IJSS_SF_SF_NSB_INS4_IJiNS7_IiLi2EEENS7_IiLi64EEEEEELb0EEES1Q_EEENS4_IJSI_SK_SJ_SX_SY_EEENS4_IJSM_SX_SY_NSH_IJLi5ELi6ELi7EEEENSH_IJLi8ELi9ELi10EEEEEEENSH_IJLi5ELi6ELi7ELi8ELi9ELi10EEEElEENS_31BlockToCTileMap_M00_N00_M01_N01ILi128ELi128ES10_Lb0EEELb0ELb0EEEvPKT0_S22_PT1_T2_T3_T4_T5_
                                        ; -- End function
	.set _ZN2ck19kernel_gemm_dl_v1r3INS_28GridwiseGemmDl_km_kn_mn_v1r3ILi256EfffLNS_25InMemoryDataOperationEnumE0ENS_16TensorDescriptorINS_5TupleIJNS_5EmbedINS4_IJiiEEENS4_IJNS_17integral_constantIiLi1EEEiEEELb0EEENS_7UnMergeINS4_IJiS8_EEELb0EEENS_11PassThroughIiEEEEENS4_IJNS_8SequenceIJLi0EEEENSH_IJLi2EEEENSH_IJLi1EEEEEEENS4_IJNSH_IJLi1ELi2EEEENSH_IJLi3ELi4EEEENSH_IJLi5EEEEEEENSH_IJLi3ELi5ELi4EEEElEENS3_INS4_IJNS5_IS6_SC_Lb0EEESD_SF_EEENS4_IJSI_SK_SJ_EEESP_SQ_lEENS3_INS4_IJSS_SF_SF_EEESU_NS4_IJSM_NSH_IJLi3EEEENSH_IJLi4EEEEEEESN_lEELi128ELi128ELi16ELi1ELi4ELi4ELi1ENSH_IJLi8ELi2EEEES11_NSH_IJLi2ELi1ELi4ELi1EEEENSH_IJLi8ELi1ELi32ELi1EEEENSH_IJLi0ELi3ELi1ELi2EEEES14_NSH_IJLi1ELi1ELi4ELi1EEEES14_S15_S12_S13_S14_S14_S15_S14_S15_NSH_IJLi0ELi1ELi2ELi3ELi4ELi5EEEELi5ELi4EEEffNS3_INS4_IJSA_SD_SF_SF_NSB_INS4_IJiNS7_IiLi128EEEEEELb0EEENSE_IS8_EEEEENS4_IJSI_SJ_SK_SX_SO_SY_EEENS4_IJSM_SN_SO_NSH_IJLi6EEEENSH_IJLi7ELi8EEEENSH_IJLi9EEEEEEENSH_IJLi6ELi7ELi8ELi9EEEElEENS3_INS4_IJSS_SD_SF_SF_S1A_S1B_EEENS4_IJSI_SK_SJ_SX_SO_SY_EEES1H_S1I_lEENS3_INS4_IJSS_SF_SF_NSB_INS4_IJiNS7_IiLi2EEENS7_IiLi64EEEEEELb0EEES1Q_EEENS4_IJSI_SK_SJ_SX_SY_EEENS4_IJSM_SX_SY_NSH_IJLi5ELi6ELi7EEEENSH_IJLi8ELi9ELi10EEEEEEENSH_IJLi5ELi6ELi7ELi8ELi9ELi10EEEElEENS_31BlockToCTileMap_M00_N00_M01_N01ILi128ELi128ES10_Lb0EEELb0ELb0EEEvPKT0_S22_PT1_T2_T3_T4_T5_.num_vgpr, 88
	.set _ZN2ck19kernel_gemm_dl_v1r3INS_28GridwiseGemmDl_km_kn_mn_v1r3ILi256EfffLNS_25InMemoryDataOperationEnumE0ENS_16TensorDescriptorINS_5TupleIJNS_5EmbedINS4_IJiiEEENS4_IJNS_17integral_constantIiLi1EEEiEEELb0EEENS_7UnMergeINS4_IJiS8_EEELb0EEENS_11PassThroughIiEEEEENS4_IJNS_8SequenceIJLi0EEEENSH_IJLi2EEEENSH_IJLi1EEEEEEENS4_IJNSH_IJLi1ELi2EEEENSH_IJLi3ELi4EEEENSH_IJLi5EEEEEEENSH_IJLi3ELi5ELi4EEEElEENS3_INS4_IJNS5_IS6_SC_Lb0EEESD_SF_EEENS4_IJSI_SK_SJ_EEESP_SQ_lEENS3_INS4_IJSS_SF_SF_EEESU_NS4_IJSM_NSH_IJLi3EEEENSH_IJLi4EEEEEEESN_lEELi128ELi128ELi16ELi1ELi4ELi4ELi1ENSH_IJLi8ELi2EEEES11_NSH_IJLi2ELi1ELi4ELi1EEEENSH_IJLi8ELi1ELi32ELi1EEEENSH_IJLi0ELi3ELi1ELi2EEEES14_NSH_IJLi1ELi1ELi4ELi1EEEES14_S15_S12_S13_S14_S14_S15_S14_S15_NSH_IJLi0ELi1ELi2ELi3ELi4ELi5EEEELi5ELi4EEEffNS3_INS4_IJSA_SD_SF_SF_NSB_INS4_IJiNS7_IiLi128EEEEEELb0EEENSE_IS8_EEEEENS4_IJSI_SJ_SK_SX_SO_SY_EEENS4_IJSM_SN_SO_NSH_IJLi6EEEENSH_IJLi7ELi8EEEENSH_IJLi9EEEEEEENSH_IJLi6ELi7ELi8ELi9EEEElEENS3_INS4_IJSS_SD_SF_SF_S1A_S1B_EEENS4_IJSI_SK_SJ_SX_SO_SY_EEES1H_S1I_lEENS3_INS4_IJSS_SF_SF_NSB_INS4_IJiNS7_IiLi2EEENS7_IiLi64EEEEEELb0EEES1Q_EEENS4_IJSI_SK_SJ_SX_SY_EEENS4_IJSM_SX_SY_NSH_IJLi5ELi6ELi7EEEENSH_IJLi8ELi9ELi10EEEEEEENSH_IJLi5ELi6ELi7ELi8ELi9ELi10EEEElEENS_31BlockToCTileMap_M00_N00_M01_N01ILi128ELi128ES10_Lb0EEELb0ELb0EEEvPKT0_S22_PT1_T2_T3_T4_T5_.num_agpr, 0
	.set _ZN2ck19kernel_gemm_dl_v1r3INS_28GridwiseGemmDl_km_kn_mn_v1r3ILi256EfffLNS_25InMemoryDataOperationEnumE0ENS_16TensorDescriptorINS_5TupleIJNS_5EmbedINS4_IJiiEEENS4_IJNS_17integral_constantIiLi1EEEiEEELb0EEENS_7UnMergeINS4_IJiS8_EEELb0EEENS_11PassThroughIiEEEEENS4_IJNS_8SequenceIJLi0EEEENSH_IJLi2EEEENSH_IJLi1EEEEEEENS4_IJNSH_IJLi1ELi2EEEENSH_IJLi3ELi4EEEENSH_IJLi5EEEEEEENSH_IJLi3ELi5ELi4EEEElEENS3_INS4_IJNS5_IS6_SC_Lb0EEESD_SF_EEENS4_IJSI_SK_SJ_EEESP_SQ_lEENS3_INS4_IJSS_SF_SF_EEESU_NS4_IJSM_NSH_IJLi3EEEENSH_IJLi4EEEEEEESN_lEELi128ELi128ELi16ELi1ELi4ELi4ELi1ENSH_IJLi8ELi2EEEES11_NSH_IJLi2ELi1ELi4ELi1EEEENSH_IJLi8ELi1ELi32ELi1EEEENSH_IJLi0ELi3ELi1ELi2EEEES14_NSH_IJLi1ELi1ELi4ELi1EEEES14_S15_S12_S13_S14_S14_S15_S14_S15_NSH_IJLi0ELi1ELi2ELi3ELi4ELi5EEEELi5ELi4EEEffNS3_INS4_IJSA_SD_SF_SF_NSB_INS4_IJiNS7_IiLi128EEEEEELb0EEENSE_IS8_EEEEENS4_IJSI_SJ_SK_SX_SO_SY_EEENS4_IJSM_SN_SO_NSH_IJLi6EEEENSH_IJLi7ELi8EEEENSH_IJLi9EEEEEEENSH_IJLi6ELi7ELi8ELi9EEEElEENS3_INS4_IJSS_SD_SF_SF_S1A_S1B_EEENS4_IJSI_SK_SJ_SX_SO_SY_EEES1H_S1I_lEENS3_INS4_IJSS_SF_SF_NSB_INS4_IJiNS7_IiLi2EEENS7_IiLi64EEEEEELb0EEES1Q_EEENS4_IJSI_SK_SJ_SX_SY_EEENS4_IJSM_SX_SY_NSH_IJLi5ELi6ELi7EEEENSH_IJLi8ELi9ELi10EEEEEEENSH_IJLi5ELi6ELi7ELi8ELi9ELi10EEEElEENS_31BlockToCTileMap_M00_N00_M01_N01ILi128ELi128ES10_Lb0EEELb0ELb0EEEvPKT0_S22_PT1_T2_T3_T4_T5_.numbered_sgpr, 29
	.set _ZN2ck19kernel_gemm_dl_v1r3INS_28GridwiseGemmDl_km_kn_mn_v1r3ILi256EfffLNS_25InMemoryDataOperationEnumE0ENS_16TensorDescriptorINS_5TupleIJNS_5EmbedINS4_IJiiEEENS4_IJNS_17integral_constantIiLi1EEEiEEELb0EEENS_7UnMergeINS4_IJiS8_EEELb0EEENS_11PassThroughIiEEEEENS4_IJNS_8SequenceIJLi0EEEENSH_IJLi2EEEENSH_IJLi1EEEEEEENS4_IJNSH_IJLi1ELi2EEEENSH_IJLi3ELi4EEEENSH_IJLi5EEEEEEENSH_IJLi3ELi5ELi4EEEElEENS3_INS4_IJNS5_IS6_SC_Lb0EEESD_SF_EEENS4_IJSI_SK_SJ_EEESP_SQ_lEENS3_INS4_IJSS_SF_SF_EEESU_NS4_IJSM_NSH_IJLi3EEEENSH_IJLi4EEEEEEESN_lEELi128ELi128ELi16ELi1ELi4ELi4ELi1ENSH_IJLi8ELi2EEEES11_NSH_IJLi2ELi1ELi4ELi1EEEENSH_IJLi8ELi1ELi32ELi1EEEENSH_IJLi0ELi3ELi1ELi2EEEES14_NSH_IJLi1ELi1ELi4ELi1EEEES14_S15_S12_S13_S14_S14_S15_S14_S15_NSH_IJLi0ELi1ELi2ELi3ELi4ELi5EEEELi5ELi4EEEffNS3_INS4_IJSA_SD_SF_SF_NSB_INS4_IJiNS7_IiLi128EEEEEELb0EEENSE_IS8_EEEEENS4_IJSI_SJ_SK_SX_SO_SY_EEENS4_IJSM_SN_SO_NSH_IJLi6EEEENSH_IJLi7ELi8EEEENSH_IJLi9EEEEEEENSH_IJLi6ELi7ELi8ELi9EEEElEENS3_INS4_IJSS_SD_SF_SF_S1A_S1B_EEENS4_IJSI_SK_SJ_SX_SO_SY_EEES1H_S1I_lEENS3_INS4_IJSS_SF_SF_NSB_INS4_IJiNS7_IiLi2EEENS7_IiLi64EEEEEELb0EEES1Q_EEENS4_IJSI_SK_SJ_SX_SY_EEENS4_IJSM_SX_SY_NSH_IJLi5ELi6ELi7EEEENSH_IJLi8ELi9ELi10EEEEEEENSH_IJLi5ELi6ELi7ELi8ELi9ELi10EEEElEENS_31BlockToCTileMap_M00_N00_M01_N01ILi128ELi128ES10_Lb0EEELb0ELb0EEEvPKT0_S22_PT1_T2_T3_T4_T5_.num_named_barrier, 0
	.set _ZN2ck19kernel_gemm_dl_v1r3INS_28GridwiseGemmDl_km_kn_mn_v1r3ILi256EfffLNS_25InMemoryDataOperationEnumE0ENS_16TensorDescriptorINS_5TupleIJNS_5EmbedINS4_IJiiEEENS4_IJNS_17integral_constantIiLi1EEEiEEELb0EEENS_7UnMergeINS4_IJiS8_EEELb0EEENS_11PassThroughIiEEEEENS4_IJNS_8SequenceIJLi0EEEENSH_IJLi2EEEENSH_IJLi1EEEEEEENS4_IJNSH_IJLi1ELi2EEEENSH_IJLi3ELi4EEEENSH_IJLi5EEEEEEENSH_IJLi3ELi5ELi4EEEElEENS3_INS4_IJNS5_IS6_SC_Lb0EEESD_SF_EEENS4_IJSI_SK_SJ_EEESP_SQ_lEENS3_INS4_IJSS_SF_SF_EEESU_NS4_IJSM_NSH_IJLi3EEEENSH_IJLi4EEEEEEESN_lEELi128ELi128ELi16ELi1ELi4ELi4ELi1ENSH_IJLi8ELi2EEEES11_NSH_IJLi2ELi1ELi4ELi1EEEENSH_IJLi8ELi1ELi32ELi1EEEENSH_IJLi0ELi3ELi1ELi2EEEES14_NSH_IJLi1ELi1ELi4ELi1EEEES14_S15_S12_S13_S14_S14_S15_S14_S15_NSH_IJLi0ELi1ELi2ELi3ELi4ELi5EEEELi5ELi4EEEffNS3_INS4_IJSA_SD_SF_SF_NSB_INS4_IJiNS7_IiLi128EEEEEELb0EEENSE_IS8_EEEEENS4_IJSI_SJ_SK_SX_SO_SY_EEENS4_IJSM_SN_SO_NSH_IJLi6EEEENSH_IJLi7ELi8EEEENSH_IJLi9EEEEEEENSH_IJLi6ELi7ELi8ELi9EEEElEENS3_INS4_IJSS_SD_SF_SF_S1A_S1B_EEENS4_IJSI_SK_SJ_SX_SO_SY_EEES1H_S1I_lEENS3_INS4_IJSS_SF_SF_NSB_INS4_IJiNS7_IiLi2EEENS7_IiLi64EEEEEELb0EEES1Q_EEENS4_IJSI_SK_SJ_SX_SY_EEENS4_IJSM_SX_SY_NSH_IJLi5ELi6ELi7EEEENSH_IJLi8ELi9ELi10EEEEEEENSH_IJLi5ELi6ELi7ELi8ELi9ELi10EEEElEENS_31BlockToCTileMap_M00_N00_M01_N01ILi128ELi128ES10_Lb0EEELb0ELb0EEEvPKT0_S22_PT1_T2_T3_T4_T5_.private_seg_size, 0
	.set _ZN2ck19kernel_gemm_dl_v1r3INS_28GridwiseGemmDl_km_kn_mn_v1r3ILi256EfffLNS_25InMemoryDataOperationEnumE0ENS_16TensorDescriptorINS_5TupleIJNS_5EmbedINS4_IJiiEEENS4_IJNS_17integral_constantIiLi1EEEiEEELb0EEENS_7UnMergeINS4_IJiS8_EEELb0EEENS_11PassThroughIiEEEEENS4_IJNS_8SequenceIJLi0EEEENSH_IJLi2EEEENSH_IJLi1EEEEEEENS4_IJNSH_IJLi1ELi2EEEENSH_IJLi3ELi4EEEENSH_IJLi5EEEEEEENSH_IJLi3ELi5ELi4EEEElEENS3_INS4_IJNS5_IS6_SC_Lb0EEESD_SF_EEENS4_IJSI_SK_SJ_EEESP_SQ_lEENS3_INS4_IJSS_SF_SF_EEESU_NS4_IJSM_NSH_IJLi3EEEENSH_IJLi4EEEEEEESN_lEELi128ELi128ELi16ELi1ELi4ELi4ELi1ENSH_IJLi8ELi2EEEES11_NSH_IJLi2ELi1ELi4ELi1EEEENSH_IJLi8ELi1ELi32ELi1EEEENSH_IJLi0ELi3ELi1ELi2EEEES14_NSH_IJLi1ELi1ELi4ELi1EEEES14_S15_S12_S13_S14_S14_S15_S14_S15_NSH_IJLi0ELi1ELi2ELi3ELi4ELi5EEEELi5ELi4EEEffNS3_INS4_IJSA_SD_SF_SF_NSB_INS4_IJiNS7_IiLi128EEEEEELb0EEENSE_IS8_EEEEENS4_IJSI_SJ_SK_SX_SO_SY_EEENS4_IJSM_SN_SO_NSH_IJLi6EEEENSH_IJLi7ELi8EEEENSH_IJLi9EEEEEEENSH_IJLi6ELi7ELi8ELi9EEEElEENS3_INS4_IJSS_SD_SF_SF_S1A_S1B_EEENS4_IJSI_SK_SJ_SX_SO_SY_EEES1H_S1I_lEENS3_INS4_IJSS_SF_SF_NSB_INS4_IJiNS7_IiLi2EEENS7_IiLi64EEEEEELb0EEES1Q_EEENS4_IJSI_SK_SJ_SX_SY_EEENS4_IJSM_SX_SY_NSH_IJLi5ELi6ELi7EEEENSH_IJLi8ELi9ELi10EEEEEEENSH_IJLi5ELi6ELi7ELi8ELi9ELi10EEEElEENS_31BlockToCTileMap_M00_N00_M01_N01ILi128ELi128ES10_Lb0EEELb0ELb0EEEvPKT0_S22_PT1_T2_T3_T4_T5_.uses_vcc, 0
	.set _ZN2ck19kernel_gemm_dl_v1r3INS_28GridwiseGemmDl_km_kn_mn_v1r3ILi256EfffLNS_25InMemoryDataOperationEnumE0ENS_16TensorDescriptorINS_5TupleIJNS_5EmbedINS4_IJiiEEENS4_IJNS_17integral_constantIiLi1EEEiEEELb0EEENS_7UnMergeINS4_IJiS8_EEELb0EEENS_11PassThroughIiEEEEENS4_IJNS_8SequenceIJLi0EEEENSH_IJLi2EEEENSH_IJLi1EEEEEEENS4_IJNSH_IJLi1ELi2EEEENSH_IJLi3ELi4EEEENSH_IJLi5EEEEEEENSH_IJLi3ELi5ELi4EEEElEENS3_INS4_IJNS5_IS6_SC_Lb0EEESD_SF_EEENS4_IJSI_SK_SJ_EEESP_SQ_lEENS3_INS4_IJSS_SF_SF_EEESU_NS4_IJSM_NSH_IJLi3EEEENSH_IJLi4EEEEEEESN_lEELi128ELi128ELi16ELi1ELi4ELi4ELi1ENSH_IJLi8ELi2EEEES11_NSH_IJLi2ELi1ELi4ELi1EEEENSH_IJLi8ELi1ELi32ELi1EEEENSH_IJLi0ELi3ELi1ELi2EEEES14_NSH_IJLi1ELi1ELi4ELi1EEEES14_S15_S12_S13_S14_S14_S15_S14_S15_NSH_IJLi0ELi1ELi2ELi3ELi4ELi5EEEELi5ELi4EEEffNS3_INS4_IJSA_SD_SF_SF_NSB_INS4_IJiNS7_IiLi128EEEEEELb0EEENSE_IS8_EEEEENS4_IJSI_SJ_SK_SX_SO_SY_EEENS4_IJSM_SN_SO_NSH_IJLi6EEEENSH_IJLi7ELi8EEEENSH_IJLi9EEEEEEENSH_IJLi6ELi7ELi8ELi9EEEElEENS3_INS4_IJSS_SD_SF_SF_S1A_S1B_EEENS4_IJSI_SK_SJ_SX_SO_SY_EEES1H_S1I_lEENS3_INS4_IJSS_SF_SF_NSB_INS4_IJiNS7_IiLi2EEENS7_IiLi64EEEEEELb0EEES1Q_EEENS4_IJSI_SK_SJ_SX_SY_EEENS4_IJSM_SX_SY_NSH_IJLi5ELi6ELi7EEEENSH_IJLi8ELi9ELi10EEEEEEENSH_IJLi5ELi6ELi7ELi8ELi9ELi10EEEElEENS_31BlockToCTileMap_M00_N00_M01_N01ILi128ELi128ES10_Lb0EEELb0ELb0EEEvPKT0_S22_PT1_T2_T3_T4_T5_.uses_flat_scratch, 0
	.set _ZN2ck19kernel_gemm_dl_v1r3INS_28GridwiseGemmDl_km_kn_mn_v1r3ILi256EfffLNS_25InMemoryDataOperationEnumE0ENS_16TensorDescriptorINS_5TupleIJNS_5EmbedINS4_IJiiEEENS4_IJNS_17integral_constantIiLi1EEEiEEELb0EEENS_7UnMergeINS4_IJiS8_EEELb0EEENS_11PassThroughIiEEEEENS4_IJNS_8SequenceIJLi0EEEENSH_IJLi2EEEENSH_IJLi1EEEEEEENS4_IJNSH_IJLi1ELi2EEEENSH_IJLi3ELi4EEEENSH_IJLi5EEEEEEENSH_IJLi3ELi5ELi4EEEElEENS3_INS4_IJNS5_IS6_SC_Lb0EEESD_SF_EEENS4_IJSI_SK_SJ_EEESP_SQ_lEENS3_INS4_IJSS_SF_SF_EEESU_NS4_IJSM_NSH_IJLi3EEEENSH_IJLi4EEEEEEESN_lEELi128ELi128ELi16ELi1ELi4ELi4ELi1ENSH_IJLi8ELi2EEEES11_NSH_IJLi2ELi1ELi4ELi1EEEENSH_IJLi8ELi1ELi32ELi1EEEENSH_IJLi0ELi3ELi1ELi2EEEES14_NSH_IJLi1ELi1ELi4ELi1EEEES14_S15_S12_S13_S14_S14_S15_S14_S15_NSH_IJLi0ELi1ELi2ELi3ELi4ELi5EEEELi5ELi4EEEffNS3_INS4_IJSA_SD_SF_SF_NSB_INS4_IJiNS7_IiLi128EEEEEELb0EEENSE_IS8_EEEEENS4_IJSI_SJ_SK_SX_SO_SY_EEENS4_IJSM_SN_SO_NSH_IJLi6EEEENSH_IJLi7ELi8EEEENSH_IJLi9EEEEEEENSH_IJLi6ELi7ELi8ELi9EEEElEENS3_INS4_IJSS_SD_SF_SF_S1A_S1B_EEENS4_IJSI_SK_SJ_SX_SO_SY_EEES1H_S1I_lEENS3_INS4_IJSS_SF_SF_NSB_INS4_IJiNS7_IiLi2EEENS7_IiLi64EEEEEELb0EEES1Q_EEENS4_IJSI_SK_SJ_SX_SY_EEENS4_IJSM_SX_SY_NSH_IJLi5ELi6ELi7EEEENSH_IJLi8ELi9ELi10EEEEEEENSH_IJLi5ELi6ELi7ELi8ELi9ELi10EEEElEENS_31BlockToCTileMap_M00_N00_M01_N01ILi128ELi128ES10_Lb0EEELb0ELb0EEEvPKT0_S22_PT1_T2_T3_T4_T5_.has_dyn_sized_stack, 0
	.set _ZN2ck19kernel_gemm_dl_v1r3INS_28GridwiseGemmDl_km_kn_mn_v1r3ILi256EfffLNS_25InMemoryDataOperationEnumE0ENS_16TensorDescriptorINS_5TupleIJNS_5EmbedINS4_IJiiEEENS4_IJNS_17integral_constantIiLi1EEEiEEELb0EEENS_7UnMergeINS4_IJiS8_EEELb0EEENS_11PassThroughIiEEEEENS4_IJNS_8SequenceIJLi0EEEENSH_IJLi2EEEENSH_IJLi1EEEEEEENS4_IJNSH_IJLi1ELi2EEEENSH_IJLi3ELi4EEEENSH_IJLi5EEEEEEENSH_IJLi3ELi5ELi4EEEElEENS3_INS4_IJNS5_IS6_SC_Lb0EEESD_SF_EEENS4_IJSI_SK_SJ_EEESP_SQ_lEENS3_INS4_IJSS_SF_SF_EEESU_NS4_IJSM_NSH_IJLi3EEEENSH_IJLi4EEEEEEESN_lEELi128ELi128ELi16ELi1ELi4ELi4ELi1ENSH_IJLi8ELi2EEEES11_NSH_IJLi2ELi1ELi4ELi1EEEENSH_IJLi8ELi1ELi32ELi1EEEENSH_IJLi0ELi3ELi1ELi2EEEES14_NSH_IJLi1ELi1ELi4ELi1EEEES14_S15_S12_S13_S14_S14_S15_S14_S15_NSH_IJLi0ELi1ELi2ELi3ELi4ELi5EEEELi5ELi4EEEffNS3_INS4_IJSA_SD_SF_SF_NSB_INS4_IJiNS7_IiLi128EEEEEELb0EEENSE_IS8_EEEEENS4_IJSI_SJ_SK_SX_SO_SY_EEENS4_IJSM_SN_SO_NSH_IJLi6EEEENSH_IJLi7ELi8EEEENSH_IJLi9EEEEEEENSH_IJLi6ELi7ELi8ELi9EEEElEENS3_INS4_IJSS_SD_SF_SF_S1A_S1B_EEENS4_IJSI_SK_SJ_SX_SO_SY_EEES1H_S1I_lEENS3_INS4_IJSS_SF_SF_NSB_INS4_IJiNS7_IiLi2EEENS7_IiLi64EEEEEELb0EEES1Q_EEENS4_IJSI_SK_SJ_SX_SY_EEENS4_IJSM_SX_SY_NSH_IJLi5ELi6ELi7EEEENSH_IJLi8ELi9ELi10EEEEEEENSH_IJLi5ELi6ELi7ELi8ELi9ELi10EEEElEENS_31BlockToCTileMap_M00_N00_M01_N01ILi128ELi128ES10_Lb0EEELb0ELb0EEEvPKT0_S22_PT1_T2_T3_T4_T5_.has_recursion, 0
	.set _ZN2ck19kernel_gemm_dl_v1r3INS_28GridwiseGemmDl_km_kn_mn_v1r3ILi256EfffLNS_25InMemoryDataOperationEnumE0ENS_16TensorDescriptorINS_5TupleIJNS_5EmbedINS4_IJiiEEENS4_IJNS_17integral_constantIiLi1EEEiEEELb0EEENS_7UnMergeINS4_IJiS8_EEELb0EEENS_11PassThroughIiEEEEENS4_IJNS_8SequenceIJLi0EEEENSH_IJLi2EEEENSH_IJLi1EEEEEEENS4_IJNSH_IJLi1ELi2EEEENSH_IJLi3ELi4EEEENSH_IJLi5EEEEEEENSH_IJLi3ELi5ELi4EEEElEENS3_INS4_IJNS5_IS6_SC_Lb0EEESD_SF_EEENS4_IJSI_SK_SJ_EEESP_SQ_lEENS3_INS4_IJSS_SF_SF_EEESU_NS4_IJSM_NSH_IJLi3EEEENSH_IJLi4EEEEEEESN_lEELi128ELi128ELi16ELi1ELi4ELi4ELi1ENSH_IJLi8ELi2EEEES11_NSH_IJLi2ELi1ELi4ELi1EEEENSH_IJLi8ELi1ELi32ELi1EEEENSH_IJLi0ELi3ELi1ELi2EEEES14_NSH_IJLi1ELi1ELi4ELi1EEEES14_S15_S12_S13_S14_S14_S15_S14_S15_NSH_IJLi0ELi1ELi2ELi3ELi4ELi5EEEELi5ELi4EEEffNS3_INS4_IJSA_SD_SF_SF_NSB_INS4_IJiNS7_IiLi128EEEEEELb0EEENSE_IS8_EEEEENS4_IJSI_SJ_SK_SX_SO_SY_EEENS4_IJSM_SN_SO_NSH_IJLi6EEEENSH_IJLi7ELi8EEEENSH_IJLi9EEEEEEENSH_IJLi6ELi7ELi8ELi9EEEElEENS3_INS4_IJSS_SD_SF_SF_S1A_S1B_EEENS4_IJSI_SK_SJ_SX_SO_SY_EEES1H_S1I_lEENS3_INS4_IJSS_SF_SF_NSB_INS4_IJiNS7_IiLi2EEENS7_IiLi64EEEEEELb0EEES1Q_EEENS4_IJSI_SK_SJ_SX_SY_EEENS4_IJSM_SX_SY_NSH_IJLi5ELi6ELi7EEEENSH_IJLi8ELi9ELi10EEEEEEENSH_IJLi5ELi6ELi7ELi8ELi9ELi10EEEElEENS_31BlockToCTileMap_M00_N00_M01_N01ILi128ELi128ES10_Lb0EEELb0ELb0EEEvPKT0_S22_PT1_T2_T3_T4_T5_.has_indirect_call, 0
	.section	.AMDGPU.csdata,"",@progbits
; Kernel info:
; codeLenInByte = 9936
; TotalNumSgprs: 33
; NumVgprs: 88
; ScratchSize: 0
; MemoryBound: 0
; FloatMode: 240
; IeeeMode: 1
; LDSByteSize: 32768 bytes/workgroup (compile time only)
; SGPRBlocks: 12
; VGPRBlocks: 21
; NumSGPRsForWavesPerEU: 102
; NumVGPRsForWavesPerEU: 88
; Occupancy: 2
; WaveLimiterHint : 0
; COMPUTE_PGM_RSRC2:SCRATCH_EN: 0
; COMPUTE_PGM_RSRC2:USER_SGPR: 6
; COMPUTE_PGM_RSRC2:TRAP_HANDLER: 0
; COMPUTE_PGM_RSRC2:TGID_X_EN: 1
; COMPUTE_PGM_RSRC2:TGID_Y_EN: 0
; COMPUTE_PGM_RSRC2:TGID_Z_EN: 0
; COMPUTE_PGM_RSRC2:TIDIG_COMP_CNT: 0
	.section	.text._ZN2ck17naive_gemm_kernelINS_13tensor_layout4gemm11ColumnMajorENS2_8RowMajorES4_ffffNS_16tensor_operation12element_wise11PassThroughES7_S7_ffEEvPKT2_PKT3_PT4_iiiT6_T7_T8_,"axG",@progbits,_ZN2ck17naive_gemm_kernelINS_13tensor_layout4gemm11ColumnMajorENS2_8RowMajorES4_ffffNS_16tensor_operation12element_wise11PassThroughES7_S7_ffEEvPKT2_PKT3_PT4_iiiT6_T7_T8_,comdat
	.protected	_ZN2ck17naive_gemm_kernelINS_13tensor_layout4gemm11ColumnMajorENS2_8RowMajorES4_ffffNS_16tensor_operation12element_wise11PassThroughES7_S7_ffEEvPKT2_PKT3_PT4_iiiT6_T7_T8_ ; -- Begin function _ZN2ck17naive_gemm_kernelINS_13tensor_layout4gemm11ColumnMajorENS2_8RowMajorES4_ffffNS_16tensor_operation12element_wise11PassThroughES7_S7_ffEEvPKT2_PKT3_PT4_iiiT6_T7_T8_
	.globl	_ZN2ck17naive_gemm_kernelINS_13tensor_layout4gemm11ColumnMajorENS2_8RowMajorES4_ffffNS_16tensor_operation12element_wise11PassThroughES7_S7_ffEEvPKT2_PKT3_PT4_iiiT6_T7_T8_
	.p2align	8
	.type	_ZN2ck17naive_gemm_kernelINS_13tensor_layout4gemm11ColumnMajorENS2_8RowMajorES4_ffffNS_16tensor_operation12element_wise11PassThroughES7_S7_ffEEvPKT2_PKT3_PT4_iiiT6_T7_T8_,@function
_ZN2ck17naive_gemm_kernelINS_13tensor_layout4gemm11ColumnMajorENS2_8RowMajorES4_ffffNS_16tensor_operation12element_wise11PassThroughES7_S7_ffEEvPKT2_PKT3_PT4_iiiT6_T7_T8_: ; @_ZN2ck17naive_gemm_kernelINS_13tensor_layout4gemm11ColumnMajorENS2_8RowMajorES4_ffffNS_16tensor_operation12element_wise11PassThroughES7_S7_ffEEvPKT2_PKT3_PT4_iiiT6_T7_T8_
; %bb.0:
	s_load_dword s0, s[4:5], 0x34
	s_load_dwordx4 s[8:11], s[4:5], 0x18
	s_waitcnt lgkmcnt(0)
	s_lshr_b32 s1, s0, 16
	s_and_b32 s0, s0, 0xffff
	s_mul_i32 s6, s6, s0
	s_mul_i32 s7, s7, s1
	v_add_u32_e32 v5, s6, v0
	v_add_u32_e32 v0, s7, v1
	v_cmp_gt_i32_e32 vcc, s8, v5
	v_cmp_gt_i32_e64 s[0:1], s9, v0
	s_and_b64 s[0:1], vcc, s[0:1]
	s_and_saveexec_b64 s[2:3], s[0:1]
	s_cbranch_execz .LBB5_6
; %bb.1:
	s_load_dwordx2 s[6:7], s[4:5], 0x10
	s_cmp_lt_i32 s10, 1
	s_cbranch_scc1 .LBB5_4
; %bb.2:
	s_load_dwordx4 s[0:3], s[4:5], 0x0
	v_mov_b32_e32 v6, 0
	v_mov_b32_e32 v1, v5
	;; [unrolled: 1-line block ×3, first 2 shown]
	s_waitcnt lgkmcnt(0)
	v_mov_b32_e32 v7, s1
	v_mov_b32_e32 v8, s3
.LBB5_3:                                ; =>This Inner Loop Header: Depth=1
	v_ashrrev_i32_e32 v2, 31, v1
	v_lshlrev_b64 v[9:10], 2, v[1:2]
	v_ashrrev_i32_e32 v4, 31, v3
	v_add_co_u32_e32 v9, vcc, s0, v9
	v_addc_co_u32_e32 v10, vcc, v7, v10, vcc
	global_load_dword v2, v[9:10], off
	v_lshlrev_b64 v[9:10], 2, v[3:4]
	s_add_i32 s10, s10, -1
	v_add_co_u32_e32 v9, vcc, s2, v9
	v_addc_co_u32_e32 v10, vcc, v8, v10, vcc
	global_load_dword v4, v[9:10], off
	v_add_u32_e32 v3, s9, v3
	s_cmp_eq_u32 s10, 0
	v_add_u32_e32 v1, s8, v1
	s_waitcnt vmcnt(0)
	v_fmac_f32_e32 v6, v2, v4
	s_cbranch_scc0 .LBB5_3
	s_branch .LBB5_5
.LBB5_4:
	v_mov_b32_e32 v6, 0
.LBB5_5:
	v_mad_u64_u32 v[0:1], s[0:1], v5, s9, v[0:1]
	s_waitcnt lgkmcnt(0)
	v_mov_b32_e32 v2, s7
	v_ashrrev_i32_e32 v1, 31, v0
	v_lshlrev_b64 v[0:1], 2, v[0:1]
	v_add_co_u32_e32 v0, vcc, s6, v0
	v_addc_co_u32_e32 v1, vcc, v2, v1, vcc
	global_store_dword v[0:1], v6, off
.LBB5_6:
	s_endpgm
	.section	.rodata,"a",@progbits
	.p2align	6, 0x0
	.amdhsa_kernel _ZN2ck17naive_gemm_kernelINS_13tensor_layout4gemm11ColumnMajorENS2_8RowMajorES4_ffffNS_16tensor_operation12element_wise11PassThroughES7_S7_ffEEvPKT2_PKT3_PT4_iiiT6_T7_T8_
		.amdhsa_group_segment_fixed_size 0
		.amdhsa_private_segment_fixed_size 0
		.amdhsa_kernarg_size 296
		.amdhsa_user_sgpr_count 6
		.amdhsa_user_sgpr_private_segment_buffer 1
		.amdhsa_user_sgpr_dispatch_ptr 0
		.amdhsa_user_sgpr_queue_ptr 0
		.amdhsa_user_sgpr_kernarg_segment_ptr 1
		.amdhsa_user_sgpr_dispatch_id 0
		.amdhsa_user_sgpr_flat_scratch_init 0
		.amdhsa_user_sgpr_private_segment_size 0
		.amdhsa_uses_dynamic_stack 0
		.amdhsa_system_sgpr_private_segment_wavefront_offset 0
		.amdhsa_system_sgpr_workgroup_id_x 1
		.amdhsa_system_sgpr_workgroup_id_y 1
		.amdhsa_system_sgpr_workgroup_id_z 0
		.amdhsa_system_sgpr_workgroup_info 0
		.amdhsa_system_vgpr_workitem_id 1
		.amdhsa_next_free_vgpr 11
		.amdhsa_next_free_sgpr 12
		.amdhsa_reserve_vcc 1
		.amdhsa_reserve_flat_scratch 0
		.amdhsa_float_round_mode_32 0
		.amdhsa_float_round_mode_16_64 0
		.amdhsa_float_denorm_mode_32 3
		.amdhsa_float_denorm_mode_16_64 3
		.amdhsa_dx10_clamp 1
		.amdhsa_ieee_mode 1
		.amdhsa_fp16_overflow 0
		.amdhsa_exception_fp_ieee_invalid_op 0
		.amdhsa_exception_fp_denorm_src 0
		.amdhsa_exception_fp_ieee_div_zero 0
		.amdhsa_exception_fp_ieee_overflow 0
		.amdhsa_exception_fp_ieee_underflow 0
		.amdhsa_exception_fp_ieee_inexact 0
		.amdhsa_exception_int_div_zero 0
	.end_amdhsa_kernel
	.section	.text._ZN2ck17naive_gemm_kernelINS_13tensor_layout4gemm11ColumnMajorENS2_8RowMajorES4_ffffNS_16tensor_operation12element_wise11PassThroughES7_S7_ffEEvPKT2_PKT3_PT4_iiiT6_T7_T8_,"axG",@progbits,_ZN2ck17naive_gemm_kernelINS_13tensor_layout4gemm11ColumnMajorENS2_8RowMajorES4_ffffNS_16tensor_operation12element_wise11PassThroughES7_S7_ffEEvPKT2_PKT3_PT4_iiiT6_T7_T8_,comdat
.Lfunc_end5:
	.size	_ZN2ck17naive_gemm_kernelINS_13tensor_layout4gemm11ColumnMajorENS2_8RowMajorES4_ffffNS_16tensor_operation12element_wise11PassThroughES7_S7_ffEEvPKT2_PKT3_PT4_iiiT6_T7_T8_, .Lfunc_end5-_ZN2ck17naive_gemm_kernelINS_13tensor_layout4gemm11ColumnMajorENS2_8RowMajorES4_ffffNS_16tensor_operation12element_wise11PassThroughES7_S7_ffEEvPKT2_PKT3_PT4_iiiT6_T7_T8_
                                        ; -- End function
	.set _ZN2ck17naive_gemm_kernelINS_13tensor_layout4gemm11ColumnMajorENS2_8RowMajorES4_ffffNS_16tensor_operation12element_wise11PassThroughES7_S7_ffEEvPKT2_PKT3_PT4_iiiT6_T7_T8_.num_vgpr, 11
	.set _ZN2ck17naive_gemm_kernelINS_13tensor_layout4gemm11ColumnMajorENS2_8RowMajorES4_ffffNS_16tensor_operation12element_wise11PassThroughES7_S7_ffEEvPKT2_PKT3_PT4_iiiT6_T7_T8_.num_agpr, 0
	.set _ZN2ck17naive_gemm_kernelINS_13tensor_layout4gemm11ColumnMajorENS2_8RowMajorES4_ffffNS_16tensor_operation12element_wise11PassThroughES7_S7_ffEEvPKT2_PKT3_PT4_iiiT6_T7_T8_.numbered_sgpr, 12
	.set _ZN2ck17naive_gemm_kernelINS_13tensor_layout4gemm11ColumnMajorENS2_8RowMajorES4_ffffNS_16tensor_operation12element_wise11PassThroughES7_S7_ffEEvPKT2_PKT3_PT4_iiiT6_T7_T8_.num_named_barrier, 0
	.set _ZN2ck17naive_gemm_kernelINS_13tensor_layout4gemm11ColumnMajorENS2_8RowMajorES4_ffffNS_16tensor_operation12element_wise11PassThroughES7_S7_ffEEvPKT2_PKT3_PT4_iiiT6_T7_T8_.private_seg_size, 0
	.set _ZN2ck17naive_gemm_kernelINS_13tensor_layout4gemm11ColumnMajorENS2_8RowMajorES4_ffffNS_16tensor_operation12element_wise11PassThroughES7_S7_ffEEvPKT2_PKT3_PT4_iiiT6_T7_T8_.uses_vcc, 1
	.set _ZN2ck17naive_gemm_kernelINS_13tensor_layout4gemm11ColumnMajorENS2_8RowMajorES4_ffffNS_16tensor_operation12element_wise11PassThroughES7_S7_ffEEvPKT2_PKT3_PT4_iiiT6_T7_T8_.uses_flat_scratch, 0
	.set _ZN2ck17naive_gemm_kernelINS_13tensor_layout4gemm11ColumnMajorENS2_8RowMajorES4_ffffNS_16tensor_operation12element_wise11PassThroughES7_S7_ffEEvPKT2_PKT3_PT4_iiiT6_T7_T8_.has_dyn_sized_stack, 0
	.set _ZN2ck17naive_gemm_kernelINS_13tensor_layout4gemm11ColumnMajorENS2_8RowMajorES4_ffffNS_16tensor_operation12element_wise11PassThroughES7_S7_ffEEvPKT2_PKT3_PT4_iiiT6_T7_T8_.has_recursion, 0
	.set _ZN2ck17naive_gemm_kernelINS_13tensor_layout4gemm11ColumnMajorENS2_8RowMajorES4_ffffNS_16tensor_operation12element_wise11PassThroughES7_S7_ffEEvPKT2_PKT3_PT4_iiiT6_T7_T8_.has_indirect_call, 0
	.section	.AMDGPU.csdata,"",@progbits
; Kernel info:
; codeLenInByte = 260
; TotalNumSgprs: 16
; NumVgprs: 11
; ScratchSize: 0
; MemoryBound: 0
; FloatMode: 240
; IeeeMode: 1
; LDSByteSize: 0 bytes/workgroup (compile time only)
; SGPRBlocks: 1
; VGPRBlocks: 2
; NumSGPRsForWavesPerEU: 16
; NumVGPRsForWavesPerEU: 11
; Occupancy: 10
; WaveLimiterHint : 0
; COMPUTE_PGM_RSRC2:SCRATCH_EN: 0
; COMPUTE_PGM_RSRC2:USER_SGPR: 6
; COMPUTE_PGM_RSRC2:TRAP_HANDLER: 0
; COMPUTE_PGM_RSRC2:TGID_X_EN: 1
; COMPUTE_PGM_RSRC2:TGID_Y_EN: 1
; COMPUTE_PGM_RSRC2:TGID_Z_EN: 0
; COMPUTE_PGM_RSRC2:TIDIG_COMP_CNT: 1
	.section	.AMDGPU.gpr_maximums,"",@progbits
	.set amdgpu.max_num_vgpr, 0
	.set amdgpu.max_num_agpr, 0
	.set amdgpu.max_num_sgpr, 0
	.section	.AMDGPU.csdata,"",@progbits
	.type	__hip_cuid_6e7fbe83f090780b,@object ; @__hip_cuid_6e7fbe83f090780b
	.section	.bss,"aw",@nobits
	.globl	__hip_cuid_6e7fbe83f090780b
__hip_cuid_6e7fbe83f090780b:
	.byte	0                               ; 0x0
	.size	__hip_cuid_6e7fbe83f090780b, 1

	.ident	"AMD clang version 22.0.0git (https://github.com/RadeonOpenCompute/llvm-project roc-7.2.4 26084 f58b06dce1f9c15707c5f808fd002e18c2accf7e)"
	.section	".note.GNU-stack","",@progbits
	.addrsig
	.addrsig_sym __hip_cuid_6e7fbe83f090780b
	.amdgpu_metadata
---
amdhsa.kernels:
  - .args:           []
    .group_segment_fixed_size: 0
    .kernarg_segment_align: 4
    .kernarg_segment_size: 0
    .language:       OpenCL C
    .language_version:
      - 2
      - 0
    .max_flat_workgroup_size: 1024
    .name:           _ZN2ckL12flush_icacheEv
    .private_segment_fixed_size: 0
    .sgpr_count:     4
    .sgpr_spill_count: 0
    .symbol:         _ZN2ckL12flush_icacheEv.kd
    .uniform_work_group_size: 1
    .uses_dynamic_stack: false
    .vgpr_count:     0
    .vgpr_spill_count: 0
    .wavefront_size: 64
  - .args:
      - .actual_access:  read_only
        .address_space:  global
        .offset:         0
        .size:           8
        .value_kind:     global_buffer
      - .actual_access:  read_only
        .address_space:  global
        .offset:         8
        .size:           8
        .value_kind:     global_buffer
      - .actual_access:  write_only
        .address_space:  global
        .offset:         16
        .size:           8
        .value_kind:     global_buffer
      - .offset:         24
        .size:           64
        .value_kind:     by_value
      - .offset:         88
        .size:           64
        .value_kind:     by_value
      - .offset:         152
        .size:           64
        .value_kind:     by_value
      - .offset:         216
        .size:           112
        .value_kind:     by_value
    .group_segment_fixed_size: 32768
    .kernarg_segment_align: 8
    .kernarg_segment_size: 328
    .language:       OpenCL C
    .language_version:
      - 2
      - 0
    .max_flat_workgroup_size: 256
    .name:           _ZN2ck19kernel_gemm_dl_v1r3INS_28GridwiseGemmDl_km_kn_mn_v1r3ILi256EfffLNS_25InMemoryDataOperationEnumE0ENS_16TensorDescriptorINS_5TupleIJNS_5EmbedINS4_IJiiEEENS4_IJNS_17integral_constantIiLi1EEEiEEELb0EEENS_7UnMergeINS4_IJiS8_EEELb0EEENS_11PassThroughIiEEEEENS4_IJNS_8SequenceIJLi0EEEENSH_IJLi2EEEENSH_IJLi1EEEEEEENS4_IJNSH_IJLi1ELi2EEEENSH_IJLi3ELi4EEEENSH_IJLi5EEEEEEENSH_IJLi3ELi5ELi4EEEElEENS3_INS4_IJNS5_IS6_SC_Lb0EEESD_SF_EEENS4_IJSI_SK_SJ_EEESP_SQ_lEENS3_INS4_IJSS_SF_SF_EEESU_NS4_IJSM_NSH_IJLi3EEEENSH_IJLi4EEEEEEESN_lEELi128ELi128ELi16ELi1ELi4ELi4ELi1ENSH_IJLi8ELi2EEEES11_NSH_IJLi2ELi1ELi4ELi1EEEENSH_IJLi8ELi1ELi32ELi1EEEENSH_IJLi0ELi3ELi1ELi2EEEES14_NSH_IJLi1ELi1ELi4ELi1EEEES14_S15_S12_S13_S14_S14_S15_S14_S15_NSH_IJLi0ELi1ELi2ELi3ELi4ELi5EEEELi5ELi4EEEffNS3_INS4_IJSA_SD_SF_SF_NSB_INS4_IJiNS7_IiLi128EEEEEELb0EEENSE_IS8_EEEEENS4_IJSI_SJ_SK_SX_SO_SY_EEENS4_IJSM_SN_SO_NSH_IJLi6EEEENSH_IJLi7ELi8EEEENSH_IJLi9EEEEEEENSH_IJLi6ELi7ELi8ELi9EEEElEENS3_INS4_IJSS_SD_SF_SF_S1A_S1B_EEENS4_IJSI_SK_SJ_SX_SO_SY_EEES1H_S1I_lEENS3_INS4_IJSS_SF_SF_NSB_INS4_IJiNS7_IiLi2EEENS7_IiLi64EEEEEELb0EEES1Q_EEENS4_IJSI_SK_SJ_SX_SY_EEENS4_IJSM_SX_SY_NSH_IJLi5ELi6ELi7EEEENSH_IJLi8ELi9ELi10EEEEEEENSH_IJLi5ELi6ELi7ELi8ELi9ELi10EEEElEENS_31BlockToCTileMap_M00_N00_M01_N01ILi128ELi128ES10_Lb0EEELb1ELb1EEEvPKT0_S22_PT1_T2_T3_T4_T5_
    .private_segment_fixed_size: 0
    .sgpr_count:     35
    .sgpr_spill_count: 0
    .symbol:         _ZN2ck19kernel_gemm_dl_v1r3INS_28GridwiseGemmDl_km_kn_mn_v1r3ILi256EfffLNS_25InMemoryDataOperationEnumE0ENS_16TensorDescriptorINS_5TupleIJNS_5EmbedINS4_IJiiEEENS4_IJNS_17integral_constantIiLi1EEEiEEELb0EEENS_7UnMergeINS4_IJiS8_EEELb0EEENS_11PassThroughIiEEEEENS4_IJNS_8SequenceIJLi0EEEENSH_IJLi2EEEENSH_IJLi1EEEEEEENS4_IJNSH_IJLi1ELi2EEEENSH_IJLi3ELi4EEEENSH_IJLi5EEEEEEENSH_IJLi3ELi5ELi4EEEElEENS3_INS4_IJNS5_IS6_SC_Lb0EEESD_SF_EEENS4_IJSI_SK_SJ_EEESP_SQ_lEENS3_INS4_IJSS_SF_SF_EEESU_NS4_IJSM_NSH_IJLi3EEEENSH_IJLi4EEEEEEESN_lEELi128ELi128ELi16ELi1ELi4ELi4ELi1ENSH_IJLi8ELi2EEEES11_NSH_IJLi2ELi1ELi4ELi1EEEENSH_IJLi8ELi1ELi32ELi1EEEENSH_IJLi0ELi3ELi1ELi2EEEES14_NSH_IJLi1ELi1ELi4ELi1EEEES14_S15_S12_S13_S14_S14_S15_S14_S15_NSH_IJLi0ELi1ELi2ELi3ELi4ELi5EEEELi5ELi4EEEffNS3_INS4_IJSA_SD_SF_SF_NSB_INS4_IJiNS7_IiLi128EEEEEELb0EEENSE_IS8_EEEEENS4_IJSI_SJ_SK_SX_SO_SY_EEENS4_IJSM_SN_SO_NSH_IJLi6EEEENSH_IJLi7ELi8EEEENSH_IJLi9EEEEEEENSH_IJLi6ELi7ELi8ELi9EEEElEENS3_INS4_IJSS_SD_SF_SF_S1A_S1B_EEENS4_IJSI_SK_SJ_SX_SO_SY_EEES1H_S1I_lEENS3_INS4_IJSS_SF_SF_NSB_INS4_IJiNS7_IiLi2EEENS7_IiLi64EEEEEELb0EEES1Q_EEENS4_IJSI_SK_SJ_SX_SY_EEENS4_IJSM_SX_SY_NSH_IJLi5ELi6ELi7EEEENSH_IJLi8ELi9ELi10EEEEEEENSH_IJLi5ELi6ELi7ELi8ELi9ELi10EEEElEENS_31BlockToCTileMap_M00_N00_M01_N01ILi128ELi128ES10_Lb0EEELb1ELb1EEEvPKT0_S22_PT1_T2_T3_T4_T5_.kd
    .uniform_work_group_size: 1
    .uses_dynamic_stack: false
    .vgpr_count:     117
    .vgpr_spill_count: 0
    .wavefront_size: 64
  - .args:
      - .actual_access:  read_only
        .address_space:  global
        .offset:         0
        .size:           8
        .value_kind:     global_buffer
      - .actual_access:  read_only
        .address_space:  global
        .offset:         8
        .size:           8
        .value_kind:     global_buffer
      - .actual_access:  write_only
        .address_space:  global
        .offset:         16
        .size:           8
        .value_kind:     global_buffer
      - .offset:         24
        .size:           64
        .value_kind:     by_value
      - .offset:         88
        .size:           64
        .value_kind:     by_value
      - .offset:         152
        .size:           64
        .value_kind:     by_value
      - .offset:         216
        .size:           112
        .value_kind:     by_value
    .group_segment_fixed_size: 32768
    .kernarg_segment_align: 8
    .kernarg_segment_size: 328
    .language:       OpenCL C
    .language_version:
      - 2
      - 0
    .max_flat_workgroup_size: 256
    .name:           _ZN2ck19kernel_gemm_dl_v1r3INS_28GridwiseGemmDl_km_kn_mn_v1r3ILi256EfffLNS_25InMemoryDataOperationEnumE0ENS_16TensorDescriptorINS_5TupleIJNS_5EmbedINS4_IJiiEEENS4_IJNS_17integral_constantIiLi1EEEiEEELb0EEENS_7UnMergeINS4_IJiS8_EEELb0EEENS_11PassThroughIiEEEEENS4_IJNS_8SequenceIJLi0EEEENSH_IJLi2EEEENSH_IJLi1EEEEEEENS4_IJNSH_IJLi1ELi2EEEENSH_IJLi3ELi4EEEENSH_IJLi5EEEEEEENSH_IJLi3ELi5ELi4EEEElEENS3_INS4_IJNS5_IS6_SC_Lb0EEESD_SF_EEENS4_IJSI_SK_SJ_EEESP_SQ_lEENS3_INS4_IJSS_SF_SF_EEESU_NS4_IJSM_NSH_IJLi3EEEENSH_IJLi4EEEEEEESN_lEELi128ELi128ELi16ELi1ELi4ELi4ELi1ENSH_IJLi8ELi2EEEES11_NSH_IJLi2ELi1ELi4ELi1EEEENSH_IJLi8ELi1ELi32ELi1EEEENSH_IJLi0ELi3ELi1ELi2EEEES14_NSH_IJLi1ELi1ELi4ELi1EEEES14_S15_S12_S13_S14_S14_S15_S14_S15_NSH_IJLi0ELi1ELi2ELi3ELi4ELi5EEEELi5ELi4EEEffNS3_INS4_IJSA_SD_SF_SF_NSB_INS4_IJiNS7_IiLi128EEEEEELb0EEENSE_IS8_EEEEENS4_IJSI_SJ_SK_SX_SO_SY_EEENS4_IJSM_SN_SO_NSH_IJLi6EEEENSH_IJLi7ELi8EEEENSH_IJLi9EEEEEEENSH_IJLi6ELi7ELi8ELi9EEEElEENS3_INS4_IJSS_SD_SF_SF_S1A_S1B_EEENS4_IJSI_SK_SJ_SX_SO_SY_EEES1H_S1I_lEENS3_INS4_IJSS_SF_SF_NSB_INS4_IJiNS7_IiLi2EEENS7_IiLi64EEEEEELb0EEES1Q_EEENS4_IJSI_SK_SJ_SX_SY_EEENS4_IJSM_SX_SY_NSH_IJLi5ELi6ELi7EEEENSH_IJLi8ELi9ELi10EEEEEEENSH_IJLi5ELi6ELi7ELi8ELi9ELi10EEEElEENS_31BlockToCTileMap_M00_N00_M01_N01ILi128ELi128ES10_Lb0EEELb1ELb0EEEvPKT0_S22_PT1_T2_T3_T4_T5_
    .private_segment_fixed_size: 0
    .sgpr_count:     35
    .sgpr_spill_count: 0
    .symbol:         _ZN2ck19kernel_gemm_dl_v1r3INS_28GridwiseGemmDl_km_kn_mn_v1r3ILi256EfffLNS_25InMemoryDataOperationEnumE0ENS_16TensorDescriptorINS_5TupleIJNS_5EmbedINS4_IJiiEEENS4_IJNS_17integral_constantIiLi1EEEiEEELb0EEENS_7UnMergeINS4_IJiS8_EEELb0EEENS_11PassThroughIiEEEEENS4_IJNS_8SequenceIJLi0EEEENSH_IJLi2EEEENSH_IJLi1EEEEEEENS4_IJNSH_IJLi1ELi2EEEENSH_IJLi3ELi4EEEENSH_IJLi5EEEEEEENSH_IJLi3ELi5ELi4EEEElEENS3_INS4_IJNS5_IS6_SC_Lb0EEESD_SF_EEENS4_IJSI_SK_SJ_EEESP_SQ_lEENS3_INS4_IJSS_SF_SF_EEESU_NS4_IJSM_NSH_IJLi3EEEENSH_IJLi4EEEEEEESN_lEELi128ELi128ELi16ELi1ELi4ELi4ELi1ENSH_IJLi8ELi2EEEES11_NSH_IJLi2ELi1ELi4ELi1EEEENSH_IJLi8ELi1ELi32ELi1EEEENSH_IJLi0ELi3ELi1ELi2EEEES14_NSH_IJLi1ELi1ELi4ELi1EEEES14_S15_S12_S13_S14_S14_S15_S14_S15_NSH_IJLi0ELi1ELi2ELi3ELi4ELi5EEEELi5ELi4EEEffNS3_INS4_IJSA_SD_SF_SF_NSB_INS4_IJiNS7_IiLi128EEEEEELb0EEENSE_IS8_EEEEENS4_IJSI_SJ_SK_SX_SO_SY_EEENS4_IJSM_SN_SO_NSH_IJLi6EEEENSH_IJLi7ELi8EEEENSH_IJLi9EEEEEEENSH_IJLi6ELi7ELi8ELi9EEEElEENS3_INS4_IJSS_SD_SF_SF_S1A_S1B_EEENS4_IJSI_SK_SJ_SX_SO_SY_EEES1H_S1I_lEENS3_INS4_IJSS_SF_SF_NSB_INS4_IJiNS7_IiLi2EEENS7_IiLi64EEEEEELb0EEES1Q_EEENS4_IJSI_SK_SJ_SX_SY_EEENS4_IJSM_SX_SY_NSH_IJLi5ELi6ELi7EEEENSH_IJLi8ELi9ELi10EEEEEEENSH_IJLi5ELi6ELi7ELi8ELi9ELi10EEEElEENS_31BlockToCTileMap_M00_N00_M01_N01ILi128ELi128ES10_Lb0EEELb1ELb0EEEvPKT0_S22_PT1_T2_T3_T4_T5_.kd
    .uniform_work_group_size: 1
    .uses_dynamic_stack: false
    .vgpr_count:     114
    .vgpr_spill_count: 0
    .wavefront_size: 64
  - .args:
      - .actual_access:  read_only
        .address_space:  global
        .offset:         0
        .size:           8
        .value_kind:     global_buffer
      - .actual_access:  read_only
        .address_space:  global
        .offset:         8
        .size:           8
        .value_kind:     global_buffer
      - .actual_access:  write_only
        .address_space:  global
        .offset:         16
        .size:           8
        .value_kind:     global_buffer
      - .offset:         24
        .size:           64
        .value_kind:     by_value
      - .offset:         88
        .size:           64
        .value_kind:     by_value
      - .offset:         152
        .size:           64
        .value_kind:     by_value
      - .offset:         216
        .size:           112
        .value_kind:     by_value
    .group_segment_fixed_size: 32768
    .kernarg_segment_align: 8
    .kernarg_segment_size: 328
    .language:       OpenCL C
    .language_version:
      - 2
      - 0
    .max_flat_workgroup_size: 256
    .name:           _ZN2ck19kernel_gemm_dl_v1r3INS_28GridwiseGemmDl_km_kn_mn_v1r3ILi256EfffLNS_25InMemoryDataOperationEnumE0ENS_16TensorDescriptorINS_5TupleIJNS_5EmbedINS4_IJiiEEENS4_IJNS_17integral_constantIiLi1EEEiEEELb0EEENS_7UnMergeINS4_IJiS8_EEELb0EEENS_11PassThroughIiEEEEENS4_IJNS_8SequenceIJLi0EEEENSH_IJLi2EEEENSH_IJLi1EEEEEEENS4_IJNSH_IJLi1ELi2EEEENSH_IJLi3ELi4EEEENSH_IJLi5EEEEEEENSH_IJLi3ELi5ELi4EEEElEENS3_INS4_IJNS5_IS6_SC_Lb0EEESD_SF_EEENS4_IJSI_SK_SJ_EEESP_SQ_lEENS3_INS4_IJSS_SF_SF_EEESU_NS4_IJSM_NSH_IJLi3EEEENSH_IJLi4EEEEEEESN_lEELi128ELi128ELi16ELi1ELi4ELi4ELi1ENSH_IJLi8ELi2EEEES11_NSH_IJLi2ELi1ELi4ELi1EEEENSH_IJLi8ELi1ELi32ELi1EEEENSH_IJLi0ELi3ELi1ELi2EEEES14_NSH_IJLi1ELi1ELi4ELi1EEEES14_S15_S12_S13_S14_S14_S15_S14_S15_NSH_IJLi0ELi1ELi2ELi3ELi4ELi5EEEELi5ELi4EEEffNS3_INS4_IJSA_SD_SF_SF_NSB_INS4_IJiNS7_IiLi128EEEEEELb0EEENSE_IS8_EEEEENS4_IJSI_SJ_SK_SX_SO_SY_EEENS4_IJSM_SN_SO_NSH_IJLi6EEEENSH_IJLi7ELi8EEEENSH_IJLi9EEEEEEENSH_IJLi6ELi7ELi8ELi9EEEElEENS3_INS4_IJSS_SD_SF_SF_S1A_S1B_EEENS4_IJSI_SK_SJ_SX_SO_SY_EEES1H_S1I_lEENS3_INS4_IJSS_SF_SF_NSB_INS4_IJiNS7_IiLi2EEENS7_IiLi64EEEEEELb0EEES1Q_EEENS4_IJSI_SK_SJ_SX_SY_EEENS4_IJSM_SX_SY_NSH_IJLi5ELi6ELi7EEEENSH_IJLi8ELi9ELi10EEEEEEENSH_IJLi5ELi6ELi7ELi8ELi9ELi10EEEElEENS_31BlockToCTileMap_M00_N00_M01_N01ILi128ELi128ES10_Lb0EEELb0ELb1EEEvPKT0_S22_PT1_T2_T3_T4_T5_
    .private_segment_fixed_size: 0
    .sgpr_count:     33
    .sgpr_spill_count: 0
    .symbol:         _ZN2ck19kernel_gemm_dl_v1r3INS_28GridwiseGemmDl_km_kn_mn_v1r3ILi256EfffLNS_25InMemoryDataOperationEnumE0ENS_16TensorDescriptorINS_5TupleIJNS_5EmbedINS4_IJiiEEENS4_IJNS_17integral_constantIiLi1EEEiEEELb0EEENS_7UnMergeINS4_IJiS8_EEELb0EEENS_11PassThroughIiEEEEENS4_IJNS_8SequenceIJLi0EEEENSH_IJLi2EEEENSH_IJLi1EEEEEEENS4_IJNSH_IJLi1ELi2EEEENSH_IJLi3ELi4EEEENSH_IJLi5EEEEEEENSH_IJLi3ELi5ELi4EEEElEENS3_INS4_IJNS5_IS6_SC_Lb0EEESD_SF_EEENS4_IJSI_SK_SJ_EEESP_SQ_lEENS3_INS4_IJSS_SF_SF_EEESU_NS4_IJSM_NSH_IJLi3EEEENSH_IJLi4EEEEEEESN_lEELi128ELi128ELi16ELi1ELi4ELi4ELi1ENSH_IJLi8ELi2EEEES11_NSH_IJLi2ELi1ELi4ELi1EEEENSH_IJLi8ELi1ELi32ELi1EEEENSH_IJLi0ELi3ELi1ELi2EEEES14_NSH_IJLi1ELi1ELi4ELi1EEEES14_S15_S12_S13_S14_S14_S15_S14_S15_NSH_IJLi0ELi1ELi2ELi3ELi4ELi5EEEELi5ELi4EEEffNS3_INS4_IJSA_SD_SF_SF_NSB_INS4_IJiNS7_IiLi128EEEEEELb0EEENSE_IS8_EEEEENS4_IJSI_SJ_SK_SX_SO_SY_EEENS4_IJSM_SN_SO_NSH_IJLi6EEEENSH_IJLi7ELi8EEEENSH_IJLi9EEEEEEENSH_IJLi6ELi7ELi8ELi9EEEElEENS3_INS4_IJSS_SD_SF_SF_S1A_S1B_EEENS4_IJSI_SK_SJ_SX_SO_SY_EEES1H_S1I_lEENS3_INS4_IJSS_SF_SF_NSB_INS4_IJiNS7_IiLi2EEENS7_IiLi64EEEEEELb0EEES1Q_EEENS4_IJSI_SK_SJ_SX_SY_EEENS4_IJSM_SX_SY_NSH_IJLi5ELi6ELi7EEEENSH_IJLi8ELi9ELi10EEEEEEENSH_IJLi5ELi6ELi7ELi8ELi9ELi10EEEElEENS_31BlockToCTileMap_M00_N00_M01_N01ILi128ELi128ES10_Lb0EEELb0ELb1EEEvPKT0_S22_PT1_T2_T3_T4_T5_.kd
    .uniform_work_group_size: 1
    .uses_dynamic_stack: false
    .vgpr_count:     101
    .vgpr_spill_count: 0
    .wavefront_size: 64
  - .args:
      - .actual_access:  read_only
        .address_space:  global
        .offset:         0
        .size:           8
        .value_kind:     global_buffer
      - .actual_access:  read_only
        .address_space:  global
        .offset:         8
        .size:           8
        .value_kind:     global_buffer
      - .actual_access:  write_only
        .address_space:  global
        .offset:         16
        .size:           8
        .value_kind:     global_buffer
      - .offset:         24
        .size:           64
        .value_kind:     by_value
      - .offset:         88
        .size:           64
        .value_kind:     by_value
      - .offset:         152
        .size:           64
        .value_kind:     by_value
      - .offset:         216
        .size:           112
        .value_kind:     by_value
    .group_segment_fixed_size: 32768
    .kernarg_segment_align: 8
    .kernarg_segment_size: 328
    .language:       OpenCL C
    .language_version:
      - 2
      - 0
    .max_flat_workgroup_size: 256
    .name:           _ZN2ck19kernel_gemm_dl_v1r3INS_28GridwiseGemmDl_km_kn_mn_v1r3ILi256EfffLNS_25InMemoryDataOperationEnumE0ENS_16TensorDescriptorINS_5TupleIJNS_5EmbedINS4_IJiiEEENS4_IJNS_17integral_constantIiLi1EEEiEEELb0EEENS_7UnMergeINS4_IJiS8_EEELb0EEENS_11PassThroughIiEEEEENS4_IJNS_8SequenceIJLi0EEEENSH_IJLi2EEEENSH_IJLi1EEEEEEENS4_IJNSH_IJLi1ELi2EEEENSH_IJLi3ELi4EEEENSH_IJLi5EEEEEEENSH_IJLi3ELi5ELi4EEEElEENS3_INS4_IJNS5_IS6_SC_Lb0EEESD_SF_EEENS4_IJSI_SK_SJ_EEESP_SQ_lEENS3_INS4_IJSS_SF_SF_EEESU_NS4_IJSM_NSH_IJLi3EEEENSH_IJLi4EEEEEEESN_lEELi128ELi128ELi16ELi1ELi4ELi4ELi1ENSH_IJLi8ELi2EEEES11_NSH_IJLi2ELi1ELi4ELi1EEEENSH_IJLi8ELi1ELi32ELi1EEEENSH_IJLi0ELi3ELi1ELi2EEEES14_NSH_IJLi1ELi1ELi4ELi1EEEES14_S15_S12_S13_S14_S14_S15_S14_S15_NSH_IJLi0ELi1ELi2ELi3ELi4ELi5EEEELi5ELi4EEEffNS3_INS4_IJSA_SD_SF_SF_NSB_INS4_IJiNS7_IiLi128EEEEEELb0EEENSE_IS8_EEEEENS4_IJSI_SJ_SK_SX_SO_SY_EEENS4_IJSM_SN_SO_NSH_IJLi6EEEENSH_IJLi7ELi8EEEENSH_IJLi9EEEEEEENSH_IJLi6ELi7ELi8ELi9EEEElEENS3_INS4_IJSS_SD_SF_SF_S1A_S1B_EEENS4_IJSI_SK_SJ_SX_SO_SY_EEES1H_S1I_lEENS3_INS4_IJSS_SF_SF_NSB_INS4_IJiNS7_IiLi2EEENS7_IiLi64EEEEEELb0EEES1Q_EEENS4_IJSI_SK_SJ_SX_SY_EEENS4_IJSM_SX_SY_NSH_IJLi5ELi6ELi7EEEENSH_IJLi8ELi9ELi10EEEEEEENSH_IJLi5ELi6ELi7ELi8ELi9ELi10EEEElEENS_31BlockToCTileMap_M00_N00_M01_N01ILi128ELi128ES10_Lb0EEELb0ELb0EEEvPKT0_S22_PT1_T2_T3_T4_T5_
    .private_segment_fixed_size: 0
    .sgpr_count:     33
    .sgpr_spill_count: 0
    .symbol:         _ZN2ck19kernel_gemm_dl_v1r3INS_28GridwiseGemmDl_km_kn_mn_v1r3ILi256EfffLNS_25InMemoryDataOperationEnumE0ENS_16TensorDescriptorINS_5TupleIJNS_5EmbedINS4_IJiiEEENS4_IJNS_17integral_constantIiLi1EEEiEEELb0EEENS_7UnMergeINS4_IJiS8_EEELb0EEENS_11PassThroughIiEEEEENS4_IJNS_8SequenceIJLi0EEEENSH_IJLi2EEEENSH_IJLi1EEEEEEENS4_IJNSH_IJLi1ELi2EEEENSH_IJLi3ELi4EEEENSH_IJLi5EEEEEEENSH_IJLi3ELi5ELi4EEEElEENS3_INS4_IJNS5_IS6_SC_Lb0EEESD_SF_EEENS4_IJSI_SK_SJ_EEESP_SQ_lEENS3_INS4_IJSS_SF_SF_EEESU_NS4_IJSM_NSH_IJLi3EEEENSH_IJLi4EEEEEEESN_lEELi128ELi128ELi16ELi1ELi4ELi4ELi1ENSH_IJLi8ELi2EEEES11_NSH_IJLi2ELi1ELi4ELi1EEEENSH_IJLi8ELi1ELi32ELi1EEEENSH_IJLi0ELi3ELi1ELi2EEEES14_NSH_IJLi1ELi1ELi4ELi1EEEES14_S15_S12_S13_S14_S14_S15_S14_S15_NSH_IJLi0ELi1ELi2ELi3ELi4ELi5EEEELi5ELi4EEEffNS3_INS4_IJSA_SD_SF_SF_NSB_INS4_IJiNS7_IiLi128EEEEEELb0EEENSE_IS8_EEEEENS4_IJSI_SJ_SK_SX_SO_SY_EEENS4_IJSM_SN_SO_NSH_IJLi6EEEENSH_IJLi7ELi8EEEENSH_IJLi9EEEEEEENSH_IJLi6ELi7ELi8ELi9EEEElEENS3_INS4_IJSS_SD_SF_SF_S1A_S1B_EEENS4_IJSI_SK_SJ_SX_SO_SY_EEES1H_S1I_lEENS3_INS4_IJSS_SF_SF_NSB_INS4_IJiNS7_IiLi2EEENS7_IiLi64EEEEEELb0EEES1Q_EEENS4_IJSI_SK_SJ_SX_SY_EEENS4_IJSM_SX_SY_NSH_IJLi5ELi6ELi7EEEENSH_IJLi8ELi9ELi10EEEEEEENSH_IJLi5ELi6ELi7ELi8ELi9ELi10EEEElEENS_31BlockToCTileMap_M00_N00_M01_N01ILi128ELi128ES10_Lb0EEELb0ELb0EEEvPKT0_S22_PT1_T2_T3_T4_T5_.kd
    .uniform_work_group_size: 1
    .uses_dynamic_stack: false
    .vgpr_count:     88
    .vgpr_spill_count: 0
    .wavefront_size: 64
  - .args:
      - .actual_access:  read_only
        .address_space:  global
        .offset:         0
        .size:           8
        .value_kind:     global_buffer
      - .actual_access:  read_only
        .address_space:  global
        .offset:         8
        .size:           8
        .value_kind:     global_buffer
      - .actual_access:  write_only
        .address_space:  global
        .offset:         16
        .size:           8
        .value_kind:     global_buffer
      - .offset:         24
        .size:           4
        .value_kind:     by_value
      - .offset:         28
        .size:           4
        .value_kind:     by_value
      - .offset:         32
        .size:           4
        .value_kind:     by_value
      - .offset:         36
        .size:           1
        .value_kind:     by_value
      - .offset:         37
        .size:           1
        .value_kind:     by_value
      - .offset:         38
        .size:           1
        .value_kind:     by_value
      - .offset:         40
        .size:           4
        .value_kind:     hidden_block_count_x
      - .offset:         44
        .size:           4
        .value_kind:     hidden_block_count_y
      - .offset:         48
        .size:           4
        .value_kind:     hidden_block_count_z
      - .offset:         52
        .size:           2
        .value_kind:     hidden_group_size_x
      - .offset:         54
        .size:           2
        .value_kind:     hidden_group_size_y
      - .offset:         56
        .size:           2
        .value_kind:     hidden_group_size_z
      - .offset:         58
        .size:           2
        .value_kind:     hidden_remainder_x
      - .offset:         60
        .size:           2
        .value_kind:     hidden_remainder_y
      - .offset:         62
        .size:           2
        .value_kind:     hidden_remainder_z
      - .offset:         80
        .size:           8
        .value_kind:     hidden_global_offset_x
      - .offset:         88
        .size:           8
        .value_kind:     hidden_global_offset_y
      - .offset:         96
        .size:           8
        .value_kind:     hidden_global_offset_z
      - .offset:         104
        .size:           2
        .value_kind:     hidden_grid_dims
    .group_segment_fixed_size: 0
    .kernarg_segment_align: 8
    .kernarg_segment_size: 296
    .language:       OpenCL C
    .language_version:
      - 2
      - 0
    .max_flat_workgroup_size: 256
    .name:           _ZN2ck17naive_gemm_kernelINS_13tensor_layout4gemm11ColumnMajorENS2_8RowMajorES4_ffffNS_16tensor_operation12element_wise11PassThroughES7_S7_ffEEvPKT2_PKT3_PT4_iiiT6_T7_T8_
    .private_segment_fixed_size: 0
    .sgpr_count:     16
    .sgpr_spill_count: 0
    .symbol:         _ZN2ck17naive_gemm_kernelINS_13tensor_layout4gemm11ColumnMajorENS2_8RowMajorES4_ffffNS_16tensor_operation12element_wise11PassThroughES7_S7_ffEEvPKT2_PKT3_PT4_iiiT6_T7_T8_.kd
    .uniform_work_group_size: 1
    .uses_dynamic_stack: false
    .vgpr_count:     11
    .vgpr_spill_count: 0
    .wavefront_size: 64
amdhsa.target:   amdgcn-amd-amdhsa--gfx906
amdhsa.version:
  - 1
  - 2
...

	.end_amdgpu_metadata
